;; amdgpu-corpus repo=ROCm/rocFFT kind=compiled arch=gfx950 opt=O3
	.text
	.amdgcn_target "amdgcn-amd-amdhsa--gfx950"
	.amdhsa_code_object_version 6
	.protected	bluestein_single_fwd_len1275_dim1_sp_op_CI_CI ; -- Begin function bluestein_single_fwd_len1275_dim1_sp_op_CI_CI
	.globl	bluestein_single_fwd_len1275_dim1_sp_op_CI_CI
	.p2align	8
	.type	bluestein_single_fwd_len1275_dim1_sp_op_CI_CI,@function
bluestein_single_fwd_len1275_dim1_sp_op_CI_CI: ; @bluestein_single_fwd_len1275_dim1_sp_op_CI_CI
; %bb.0:
	s_load_dwordx4 s[8:11], s[0:1], 0x28
	v_mul_u32_u24_e32 v1, 0x304, v0
	v_lshrrev_b32_e32 v2, 16, v1
	v_mad_u64_u32 v[220:221], s[2:3], s2, 3, v[2:3]
	v_mov_b32_e32 v219, 0
	v_mov_b32_e32 v221, v219
	s_waitcnt lgkmcnt(0)
	v_cmp_gt_u64_e32 vcc, s[8:9], v[220:221]
	s_and_saveexec_b64 s[2:3], vcc
	s_cbranch_execz .LBB0_15
; %bb.1:
	v_mul_lo_u16_e32 v1, 0x55, v2
	s_mov_b32 s2, 0xaaaaaaab
	v_sub_u16_e32 v218, v0, v1
	v_mul_hi_u32 v0, v220, s2
	s_load_dwordx2 s[8:9], s[0:1], 0x0
	s_load_dwordx2 s[12:13], s[0:1], 0x38
	v_lshrrev_b32_e32 v0, 1, v0
	v_lshl_add_u32 v0, v0, 1, v0
	v_sub_u32_e32 v0, v220, v0
	v_mul_u32_u24_e32 v146, 0x4fb, v0
	s_movk_i32 s2, 0x4b
	v_cmp_gt_u16_e64 s[2:3], s2, v218
	v_lshlrev_b32_e32 v216, 3, v218
	v_lshlrev_b32_e32 v176, 3, v146
	s_and_saveexec_b64 s[14:15], s[2:3]
	s_cbranch_execz .LBB0_3
; %bb.2:
	s_load_dwordx2 s[4:5], s[0:1], 0x18
	v_mov_b32_e32 v0, s10
	v_mov_b32_e32 v1, s11
	;; [unrolled: 1-line block ×4, first 2 shown]
	s_waitcnt lgkmcnt(0)
	s_load_dwordx4 s[4:7], s[4:5], 0x0
	s_waitcnt lgkmcnt(0)
	v_mad_u64_u32 v[2:3], s[10:11], s6, v220, 0
	v_mad_u64_u32 v[4:5], s[10:11], s4, v218, 0
	v_mov_b32_e32 v6, v3
	v_mov_b32_e32 v8, v5
	v_mad_u64_u32 v[6:7], s[6:7], s7, v220, v[6:7]
	v_mov_b32_e32 v3, v6
	v_mad_u64_u32 v[6:7], s[6:7], s5, v218, v[8:9]
	v_mov_b32_e32 v5, v6
	v_lshl_add_u64 v[0:1], v[2:3], 3, v[0:1]
	v_lshl_add_u64 v[2:3], v[4:5], 3, v[0:1]
	global_load_dwordx2 v[0:1], v[2:3], off
	v_mad_u64_u32 v[2:3], s[6:7], s4, v68, v[2:3]
	s_mulk_i32 s5, 0x258
	v_add_u32_e32 v3, s5, v3
	v_mad_u64_u32 v[10:11], s[6:7], s4, v68, v[2:3]
	v_add_u32_e32 v11, s5, v11
	v_mad_u64_u32 v[12:13], s[6:7], s4, v68, v[10:11]
	;; [unrolled: 2-line block ×3, first 2 shown]
	v_add_u32_e32 v15, s5, v15
	global_load_dwordx2 v[6:7], v216, s[8:9]
	global_load_dwordx2 v[8:9], v216, s[8:9] offset:600
	global_load_dwordx2 v[16:17], v[2:3], off
	global_load_dwordx2 v[18:19], v[10:11], off
	;; [unrolled: 1-line block ×4, first 2 shown]
	v_mad_u64_u32 v[2:3], s[6:7], s4, v68, v[14:15]
	v_add_u32_e32 v3, s5, v3
	global_load_dwordx2 v[10:11], v[2:3], off
	global_load_dwordx2 v[12:13], v216, s[8:9] offset:1200
	global_load_dwordx2 v[14:15], v216, s[8:9] offset:1800
	;; [unrolled: 1-line block ×4, first 2 shown]
	v_mad_u64_u32 v[2:3], s[6:7], s4, v68, v[2:3]
	v_add_u32_e32 v3, s5, v3
	global_load_dwordx2 v[28:29], v[2:3], off
	global_load_dwordx2 v[30:31], v216, s[8:9] offset:3600
	v_mad_u64_u32 v[2:3], s[6:7], s4, v68, v[2:3]
	v_lshl_add_u64 v[4:5], s[8:9], 0, v[216:217]
	v_add_u32_e32 v3, s5, v3
	s_movk_i32 s6, 0x1000
	global_load_dwordx2 v[32:33], v[2:3], off
	v_add_co_u32_e32 v34, vcc, s6, v4
	v_mad_u64_u32 v[2:3], s[6:7], s4, v68, v[2:3]
	v_add_u32_e32 v3, s5, v3
	global_load_dwordx2 v[36:37], v[2:3], off
	v_mad_u64_u32 v[2:3], s[6:7], s4, v68, v[2:3]
	v_addc_co_u32_e32 v35, vcc, 0, v5, vcc
	v_add_u32_e32 v3, s5, v3
	global_load_dwordx2 v[38:39], v[34:35], off offset:104
	global_load_dwordx2 v[40:41], v[2:3], off
	v_mad_u64_u32 v[2:3], s[6:7], s4, v68, v[2:3]
	v_add_u32_e32 v3, s5, v3
	global_load_dwordx2 v[42:43], v[34:35], off offset:704
	global_load_dwordx2 v[44:45], v[2:3], off
	global_load_dwordx2 v[46:47], v[34:35], off offset:1304
	global_load_dwordx2 v[48:49], v[34:35], off offset:1904
	v_mad_u64_u32 v[2:3], s[6:7], s4, v68, v[2:3]
	v_add_u32_e32 v3, s5, v3
	global_load_dwordx2 v[50:51], v[2:3], off
	v_mad_u64_u32 v[2:3], s[6:7], s4, v68, v[2:3]
	v_add_u32_e32 v3, s5, v3
	global_load_dwordx2 v[52:53], v[2:3], off
	v_mad_u64_u32 v[2:3], s[6:7], s4, v68, v[2:3]
	v_add_u32_e32 v3, s5, v3
	global_load_dwordx2 v[54:55], v[34:35], off offset:2504
	global_load_dwordx2 v[56:57], v[2:3], off
	global_load_dwordx2 v[58:59], v[34:35], off offset:3104
	global_load_dwordx2 v[60:61], v[34:35], off offset:3704
	v_mad_u64_u32 v[2:3], s[6:7], s4, v68, v[2:3]
	v_add_u32_e32 v3, s5, v3
	s_movk_i32 s6, 0x2000
	global_load_dwordx2 v[34:35], v[2:3], off
	v_add_co_u32_e32 v4, vcc, s6, v4
	v_mad_u64_u32 v[2:3], s[6:7], s4, v68, v[2:3]
	s_nop 0
	v_addc_co_u32_e32 v5, vcc, 0, v5, vcc
	v_add_u32_e32 v3, s5, v3
	global_load_dwordx2 v[62:63], v[4:5], off offset:208
	global_load_dwordx2 v[64:65], v[2:3], off
	global_load_dwordx2 v[66:67], v[4:5], off offset:808
	v_mad_u64_u32 v[2:3], s[6:7], s4, v68, v[2:3]
	v_add_u32_e32 v3, s5, v3
	global_load_dwordx2 v[68:69], v[2:3], off
	global_load_dwordx2 v[70:71], v[4:5], off offset:1408
	v_lshl_add_u32 v4, v218, 3, v176
	s_waitcnt vmcnt(32)
	v_mul_f32_e32 v2, v1, v7
	v_fmac_f32_e32 v2, v0, v6
	v_mul_f32_e32 v0, v0, v7
	v_fma_f32 v3, v1, v6, -v0
	ds_write_b64 v4, v[2:3]
	s_waitcnt vmcnt(30)
	v_mul_f32_e32 v0, v17, v9
	v_mul_f32_e32 v1, v16, v9
	s_waitcnt vmcnt(25)
	v_mul_f32_e32 v2, v19, v13
	v_mul_f32_e32 v3, v18, v13
	v_fmac_f32_e32 v0, v16, v8
	v_add_u32_e32 v4, v176, v216
	v_fma_f32 v1, v17, v8, -v1
	v_fmac_f32_e32 v2, v18, v12
	v_fma_f32 v3, v19, v12, -v3
	ds_write2_b64 v4, v[0:1], v[2:3] offset0:75 offset1:150
	s_waitcnt vmcnt(24)
	v_mul_f32_e32 v0, v21, v15
	v_mul_f32_e32 v1, v20, v15
	s_waitcnt vmcnt(23)
	v_mul_f32_e32 v2, v23, v25
	v_mul_f32_e32 v3, v22, v25
	v_fmac_f32_e32 v0, v20, v14
	v_fma_f32 v1, v21, v14, -v1
	v_fmac_f32_e32 v2, v22, v24
	v_fma_f32 v3, v23, v24, -v3
	v_add_u32_e32 v5, 0x400, v4
	ds_write2_b64 v5, v[0:1], v[2:3] offset0:97 offset1:172
	s_waitcnt vmcnt(22)
	v_mul_f32_e32 v0, v11, v27
	v_mul_f32_e32 v1, v10, v27
	s_waitcnt vmcnt(20)
	v_mul_f32_e32 v2, v29, v31
	v_mul_f32_e32 v3, v28, v31
	v_fmac_f32_e32 v0, v10, v26
	v_fma_f32 v1, v11, v26, -v1
	v_fmac_f32_e32 v2, v28, v30
	v_fma_f32 v3, v29, v30, -v3
	v_add_u32_e32 v5, 0x800, v4
	;; [unrolled: 12-line block ×3, first 2 shown]
	ds_write2_b64 v5, v[0:1], v[2:3] offset0:13 offset1:88
	s_waitcnt vmcnt(13)
	v_mul_f32_e32 v0, v41, v47
	v_mul_f32_e32 v1, v40, v47
	s_waitcnt vmcnt(12)
	v_mul_f32_e32 v2, v45, v49
	v_mul_f32_e32 v3, v44, v49
	v_fmac_f32_e32 v0, v40, v46
	v_fma_f32 v1, v41, v46, -v1
	v_fmac_f32_e32 v2, v44, v48
	v_fma_f32 v3, v45, v48, -v3
	ds_write2_b64 v5, v[0:1], v[2:3] offset0:163 offset1:238
	s_waitcnt vmcnt(9)
	v_mul_f32_e32 v0, v51, v55
	v_mul_f32_e32 v1, v50, v55
	s_waitcnt vmcnt(7)
	v_mul_f32_e32 v2, v53, v59
	v_mul_f32_e32 v3, v52, v59
	v_fmac_f32_e32 v0, v50, v54
	v_fma_f32 v1, v51, v54, -v1
	v_fmac_f32_e32 v2, v52, v58
	v_fma_f32 v3, v53, v58, -v3
	v_add_u32_e32 v5, 0x1800, v4
	ds_write2_b64 v5, v[0:1], v[2:3] offset0:57 offset1:132
	s_waitcnt vmcnt(6)
	v_mul_f32_e32 v0, v57, v61
	v_mul_f32_e32 v1, v56, v61
	s_waitcnt vmcnt(4)
	v_mul_f32_e32 v2, v35, v63
	v_mul_f32_e32 v3, v34, v63
	v_fmac_f32_e32 v0, v56, v60
	v_fma_f32 v1, v57, v60, -v1
	v_fmac_f32_e32 v2, v34, v62
	v_fma_f32 v3, v35, v62, -v3
	v_add_u32_e32 v5, 0x1c00, v4
	;; [unrolled: 12-line block ×3, first 2 shown]
	ds_write2_b64 v4, v[0:1], v[2:3] offset0:101 offset1:176
.LBB0_3:
	s_or_b64 exec, exec, s[14:15]
	s_load_dwordx2 s[4:5], s[0:1], 0x20
	s_load_dwordx2 s[10:11], s[0:1], 0x8
	v_mov_b32_e32 v0, 0
	v_mov_b32_e32 v1, 0
	s_waitcnt lgkmcnt(0)
	s_barrier
	s_waitcnt lgkmcnt(0)
                                        ; implicit-def: $vgpr6
                                        ; implicit-def: $vgpr16
                                        ; implicit-def: $vgpr10
                                        ; implicit-def: $vgpr28
                                        ; implicit-def: $vgpr26
                                        ; implicit-def: $vgpr58
                                        ; implicit-def: $vgpr22
                                        ; implicit-def: $vgpr34
	s_and_saveexec_b64 s[0:1], s[2:3]
	s_cbranch_execz .LBB0_5
; %bb.4:
	v_lshl_add_u32 v12, v146, 3, v216
	v_add_u32_e32 v4, 0x800, v12
	v_add_u32_e32 v13, 0x1400, v12
	ds_read2_b64 v[0:3], v12 offset1:75
	ds_read2_b64 v[32:35], v12 offset0:150 offset1:225
	ds_read2_b64 v[24:27], v4 offset0:44 offset1:119
	v_add_u32_e32 v4, 0xc00, v12
	ds_read2_b64 v[16:19], v13 offset0:110 offset1:185
	v_add_u32_e32 v13, 0x1800, v12
	;; [unrolled: 2-line block ×4, first 2 shown]
	ds_read2_b64 v[4:7], v4 offset0:88 offset1:163
	ds_read2_b64 v[20:23], v13 offset0:26 offset1:101
	ds_read_b64 v[58:59], v12 offset:9600
.LBB0_5:
	s_or_b64 exec, exec, s[0:1]
	s_mov_b32 s24, 0xbeb8f4ab
	s_waitcnt lgkmcnt(0)
	v_pk_add_f32 v[40:41], v[58:59], v[2:3]
	v_pk_add_f32 v[12:13], v[2:3], v[58:59] neg_lo:[0,1] neg_hi:[0,1]
	s_mov_b32 s25, 0x3f6eb680
	s_mov_b32 s40, 0xbf2c7751
	v_mov_b32_e32 v37, v41
	v_mov_b32_e32 v41, v12
	s_mov_b32 s0, s25
	s_mov_b32 s1, s24
	;; [unrolled: 1-line block ×3, first 2 shown]
	v_pk_mul_f32 v[62:63], v[40:41], s[0:1]
	s_mov_b32 s0, s41
	s_mov_b32 s1, s40
	v_pk_mul_f32 v[66:67], v[40:41], s[0:1]
	s_mov_b32 s0, 0xbf7ee86f
	v_pk_add_f32 v[14:15], v[22:23], v[32:33]
	v_pk_add_f32 v[68:69], v[32:33], v[22:23] neg_lo:[0,1] neg_hi:[0,1]
	s_mov_b32 s1, 0x3dbcf732
	v_mov_b32_e32 v36, v13
	v_mov_b32_e32 v48, v14
	;; [unrolled: 1-line block ×3, first 2 shown]
	s_mov_b32 s48, s1
	s_mov_b32 s49, s0
	v_pk_fma_f32 v[60:61], v[36:37], s[24:25], v[62:63]
	v_pk_fma_f32 v[12:13], v[36:37], s[24:25], v[62:63] neg_lo:[0,0,1] neg_hi:[0,0,1]
	v_pk_fma_f32 v[64:65], v[36:37], s[40:41], v[66:67]
	v_pk_fma_f32 v[50:51], v[36:37], s[40:41], v[66:67] neg_lo:[0,0,1] neg_hi:[0,0,1]
	v_mov_b32_e32 v38, v69
	v_mov_b32_e32 v39, v15
	v_pk_mul_f32 v[84:85], v[48:49], s[48:49]
	s_mov_b32 s6, s41
	v_pk_mul_f32 v[54:55], v[68:69], s[40:41] op_sel:[1,0] op_sel_hi:[0,0]
	v_pk_fma_f32 v[82:83], v[38:39], s[0:1], v[84:85]
	v_pk_fma_f32 v[52:53], v[38:39], s[0:1], v[84:85] neg_lo:[0,0,1] neg_hi:[0,0,1]
	v_mov_b32_e32 v12, v60
	v_mov_b32_e32 v50, v64
	v_pk_fma_f32 v[90:91], v[14:15], s[6:7], v[54:55] op_sel_hi:[1,0,1]
	v_pk_fma_f32 v[92:93], v[14:15], s[6:7], v[54:55] op_sel_hi:[1,0,1] neg_lo:[0,0,1] neg_hi:[0,0,1]
	v_pk_add_f32 v[46:47], v[34:35], v[20:21] neg_lo:[0,1] neg_hi:[0,1]
	v_pk_add_f32 v[12:13], v[12:13], v[0:1]
	v_pk_add_f32 v[50:51], v[50:51], v[0:1]
	v_mov_b32_e32 v14, v90
	v_mov_b32_e32 v15, v93
	;; [unrolled: 1-line block ×3, first 2 shown]
	s_mov_b32 s6, 0xbf65296c
	v_pk_add_f32 v[44:45], v[20:21], v[34:35]
	v_pk_add_f32 v[12:13], v[14:15], v[12:13]
	;; [unrolled: 1-line block ×3, first 2 shown]
	s_mov_b32 s28, 0x3ee437d1
	v_pk_mul_f32 v[50:51], v[46:47], s[6:7] op_sel_hi:[1,0]
	s_mov_b32 s14, 0xbf4c4adb
	v_pk_fma_f32 v[98:99], v[44:45], s[28:29], v[50:51] op_sel:[0,0,1] op_sel_hi:[1,0,0]
	v_pk_fma_f32 v[104:105], v[44:45], s[28:29], v[50:51] op_sel:[0,0,1] op_sel_hi:[1,0,0] neg_lo:[0,0,1] neg_hi:[0,0,1]
	v_mov_b32_e32 v50, v98
	v_mov_b32_e32 v51, v105
	v_pk_add_f32 v[12:13], v[50:51], v[12:13]
	s_mov_b32 s30, 0xbf1a4643
	v_pk_mul_f32 v[50:51], v[46:47], s[14:15] op_sel_hi:[1,0]
	v_pk_add_f32 v[70:71], v[24:25], v[30:31] neg_lo:[0,1] neg_hi:[0,1]
	v_pk_fma_f32 v[86:87], v[44:45], s[30:31], v[50:51] op_sel:[0,0,1] op_sel_hi:[1,0,0]
	v_pk_fma_f32 v[88:89], v[44:45], s[30:31], v[50:51] op_sel:[0,0,1] op_sel_hi:[1,0,0] neg_lo:[0,0,1] neg_hi:[0,0,1]
	v_mov_b32_e32 v50, v86
	v_mov_b32_e32 v51, v89
	v_pk_add_f32 v[42:43], v[30:31], v[24:25]
	v_pk_add_f32 v[14:15], v[50:51], v[14:15]
	s_mov_b32 s16, s1
	v_pk_mul_f32 v[50:51], v[70:71], s[0:1] op_sel:[1,0] op_sel_hi:[0,0]
	v_pk_fma_f32 v[106:107], v[42:43], s[16:17], v[50:51] op_sel_hi:[1,0,1]
	v_pk_fma_f32 v[108:109], v[42:43], s[16:17], v[50:51] op_sel_hi:[1,0,1] neg_lo:[0,0,1] neg_hi:[0,0,1]
	v_mov_b32_e32 v50, v106
	v_mov_b32_e32 v51, v109
	s_mov_b32 s16, 0xbe3c28d5
	v_pk_add_f32 v[12:13], v[50:51], v[12:13]
	s_mov_b32 s42, 0xbf7ba420
	v_pk_mul_f32 v[50:51], v[70:71], s[16:17] op_sel:[1,0] op_sel_hi:[0,0]
	v_pk_fma_f32 v[94:95], v[42:43], s[42:43], v[50:51] op_sel_hi:[1,0,1]
	v_pk_fma_f32 v[96:97], v[42:43], s[42:43], v[50:51] op_sel_hi:[1,0,1] neg_lo:[0,0,1] neg_hi:[0,0,1]
	v_mov_b32_e32 v50, v94
	v_mov_b32_e32 v51, v97
	s_mov_b32 s20, 0xbf763a35
	v_pk_add_f32 v[72:73], v[26:27], v[28:29] neg_lo:[0,1] neg_hi:[0,1]
	v_pk_add_f32 v[14:15], v[50:51], v[14:15]
	v_pk_add_f32 v[50:51], v[28:29], v[26:27]
	s_mov_b32 s38, 0xbe8c1d8e
	v_pk_mul_f32 v[52:53], v[72:73], s[20:21] op_sel:[1,0] op_sel_hi:[0,0]
	v_pk_fma_f32 v[118:119], v[50:51], s[38:39], v[52:53] op_sel_hi:[1,0,1]
	v_pk_fma_f32 v[120:121], v[50:51], s[38:39], v[52:53] op_sel_hi:[1,0,1] neg_lo:[0,0,1] neg_hi:[0,0,1]
	v_mov_b32_e32 v52, v118
	v_mov_b32_e32 v53, v121
	s_mov_b32 s22, 0x3f06c442
	v_pk_add_f32 v[12:13], v[52:53], v[12:13]
	s_mov_b32 s44, 0xbf59a7d5
	v_pk_mul_f32 v[52:53], v[72:73], s[22:23] op_sel:[1,0] op_sel_hi:[0,0]
	v_pk_fma_f32 v[110:111], v[50:51], s[44:45], v[52:53] op_sel_hi:[1,0,1]
	v_pk_fma_f32 v[112:113], v[50:51], s[44:45], v[52:53] op_sel_hi:[1,0,1] neg_lo:[0,0,1] neg_hi:[0,0,1]
	v_mov_b32_e32 v52, v110
	v_mov_b32_e32 v53, v113
	v_pk_add_f32 v[74:75], v[8:9], v[18:19] neg_lo:[0,1] neg_hi:[0,1]
	v_pk_add_f32 v[14:15], v[52:53], v[14:15]
	v_pk_add_f32 v[52:53], v[18:19], v[8:9]
	v_pk_mul_f32 v[54:55], v[74:75], s[14:15] op_sel:[1,0] op_sel_hi:[0,0]
	v_pk_fma_f32 v[126:127], v[52:53], s[30:31], v[54:55] op_sel_hi:[1,0,1]
	v_pk_fma_f32 v[128:129], v[52:53], s[30:31], v[54:55] op_sel_hi:[1,0,1] neg_lo:[0,0,1] neg_hi:[0,0,1]
	v_mov_b32_e32 v54, v126
	v_mov_b32_e32 v55, v129
	s_mov_b32 s26, 0x3f763a35
	v_pk_add_f32 v[12:13], v[54:55], v[12:13]
	v_pk_mul_f32 v[54:55], v[74:75], s[26:27] op_sel:[1,0] op_sel_hi:[0,0]
	v_pk_fma_f32 v[114:115], v[52:53], s[38:39], v[54:55] op_sel_hi:[1,0,1]
	v_pk_fma_f32 v[116:117], v[52:53], s[38:39], v[54:55] op_sel_hi:[1,0,1] neg_lo:[0,0,1] neg_hi:[0,0,1]
	v_mov_b32_e32 v54, v114
	v_mov_b32_e32 v55, v117
	s_mov_b32 s34, 0xbf06c442
	v_pk_add_f32 v[142:143], v[10:11], v[16:17] neg_lo:[0,1] neg_hi:[0,1]
	v_pk_add_f32 v[14:15], v[54:55], v[14:15]
	v_pk_add_f32 v[54:55], v[16:17], v[10:11]
	v_pk_mul_f32 v[56:57], v[142:143], s[34:35] op_sel:[1,0] op_sel_hi:[0,0]
	v_pk_fma_f32 v[134:135], v[54:55], s[44:45], v[56:57] op_sel_hi:[1,0,1]
	v_pk_fma_f32 v[136:137], v[54:55], s[44:45], v[56:57] op_sel_hi:[1,0,1] neg_lo:[0,0,1] neg_hi:[0,0,1]
	v_mov_b32_e32 v56, v134
	v_mov_b32_e32 v57, v137
	s_mov_b32 s36, 0x3f65296c
	v_pk_add_f32 v[76:77], v[56:57], v[12:13]
	v_pk_mul_f32 v[12:13], v[142:143], s[36:37] op_sel:[1,0] op_sel_hi:[0,0]
	v_pk_fma_f32 v[122:123], v[54:55], s[28:29], v[12:13] op_sel_hi:[1,0,1]
	v_pk_fma_f32 v[124:125], v[54:55], s[28:29], v[12:13] op_sel_hi:[1,0,1] neg_lo:[0,0,1] neg_hi:[0,0,1]
	v_mov_b32_e32 v12, v122
	v_mov_b32_e32 v13, v125
	s_mov_b32 s46, 0x3eb8f4ab
	v_pk_add_f32 v[144:145], v[4:5], v[6:7] neg_lo:[0,1] neg_hi:[0,1]
	v_pk_add_f32 v[12:13], v[12:13], v[14:15]
	s_mov_b32 s18, s25
	v_pk_add_f32 v[56:57], v[6:7], v[4:5]
	v_pk_mul_f32 v[14:15], v[144:145], s[46:47] op_sel:[1,0] op_sel_hi:[0,0]
	v_pk_fma_f32 v[130:131], v[56:57], s[18:19], v[14:15] op_sel_hi:[1,0,1]
	v_pk_fma_f32 v[132:133], v[56:57], s[18:19], v[14:15] op_sel_hi:[1,0,1] neg_lo:[0,0,1] neg_hi:[0,0,1]
	v_mov_b32_e32 v14, v130
	v_mov_b32_e32 v15, v133
	v_pk_add_f32 v[12:13], v[14:15], v[12:13]
	v_pk_mul_f32 v[14:15], v[144:145], s[16:17] op_sel:[1,0] op_sel_hi:[0,0]
	v_pk_fma_f32 v[138:139], v[56:57], s[42:43], v[14:15] op_sel_hi:[1,0,1]
	v_pk_fma_f32 v[140:141], v[56:57], s[42:43], v[14:15] op_sel_hi:[1,0,1] neg_lo:[0,0,1] neg_hi:[0,0,1]
	v_mov_b32_e32 v14, v138
	v_mov_b32_e32 v15, v141
	v_pk_add_f32 v[14:15], v[14:15], v[76:77]
	v_mul_lo_u16_e32 v177, 17, v218
	s_barrier
	s_and_saveexec_b64 s[18:19], s[2:3]
	s_cbranch_execz .LBB0_7
; %bb.6:
	v_pk_add_f32 v[2:3], v[2:3], v[0:1]
	v_mov_b32_e32 v93, v91
	v_pk_add_f32 v[2:3], v[32:33], v[2:3]
	v_mov_b32_e32 v105, v99
	;; [unrolled: 2-line block ×6, first 2 shown]
	v_pk_add_f32 v[2:3], v[10:11], v[2:3]
	v_pk_mul_f32 v[8:9], v[38:39], s[0:1]
	v_pk_add_f32 v[2:3], v[4:5], v[2:3]
	v_pk_mul_f32 v[4:5], v[36:37], s[24:25]
	;; [unrolled: 2-line block ×3, first 2 shown]
	v_pk_add_f32 v[2:3], v[16:17], v[2:3]
	v_mov_b32_e32 v141, v139
	v_pk_add_f32 v[2:3], v[18:19], v[2:3]
	v_pk_add_f32 v[18:19], v[66:67], v[6:7] neg_lo:[0,1] neg_hi:[0,1]
	v_pk_add_f32 v[2:3], v[28:29], v[2:3]
	v_mov_b32_e32 v19, v65
	v_pk_add_f32 v[2:3], v[30:31], v[2:3]
	v_add_lshl_u32 v101, v146, v177, 3
	v_pk_add_f32 v[2:3], v[20:21], v[2:3]
	v_pk_add_f32 v[20:21], v[84:85], v[8:9] neg_lo:[0,1] neg_hi:[0,1]
	v_pk_add_f32 v[16:17], v[22:23], v[2:3]
	v_pk_add_f32 v[22:23], v[62:63], v[4:5] neg_lo:[0,1] neg_hi:[0,1]
	v_pk_add_f32 v[16:17], v[58:59], v[16:17]
	v_mov_b32_e32 v23, v61
	v_pk_add_f32 v[22:23], v[22:23], v[0:1]
	v_mov_b32_e32 v21, v83
	;; [unrolled: 2-line block ×5, first 2 shown]
	v_pk_add_f32 v[22:23], v[120:121], v[22:23]
	s_mov_b32 s29, s36
	v_pk_add_f32 v[22:23], v[128:129], v[22:23]
	v_mov_b32_e32 v117, v115
	v_pk_add_f32 v[22:23], v[136:137], v[22:23]
	v_mov_b32_e32 v106, v69
	v_pk_add_f32 v[22:23], v[140:141], v[22:23]
	ds_write2_b64 v101, v[16:17], v[22:23] offset1:1
	v_pk_add_f32 v[16:17], v[18:19], v[0:1]
	v_pk_mul_f32 v[68:69], v[48:49], s[28:29]
	v_pk_add_f32 v[16:17], v[20:21], v[16:17]
	s_mov_b32 s29, s6
	v_pk_add_f32 v[16:17], v[88:89], v[16:17]
	v_mov_b32_e32 v125, v123
	v_pk_add_f32 v[16:17], v[96:97], v[16:17]
	v_pk_mul_f32 v[4:5], v[40:41], s[28:29]
	v_pk_add_f32 v[16:17], v[112:113], v[16:17]
	s_mov_b32 s7, s28
	v_pk_add_f32 v[16:17], v[116:117], v[16:17]
	v_mov_b32_e32 v133, v131
	v_pk_add_f32 v[16:17], v[124:125], v[16:17]
	s_mov_b32 s31, s14
	v_pk_add_f32 v[82:83], v[132:133], v[16:17]
	v_pk_fma_f32 v[18:19], v[36:37], s[6:7], v[4:5] neg_lo:[1,0,0] neg_hi:[1,0,0]
	v_pk_fma_f32 v[16:17], v[36:37], s[6:7], v[4:5]
	s_mov_b32 s15, s30
	v_pk_mul_f32 v[2:3], v[48:49], s[30:31]
	v_mov_b32_e32 v19, v17
	v_pk_add_f32 v[20:21], v[18:19], v[0:1]
	v_pk_fma_f32 v[22:23], v[106:107], s[14:15], v[2:3] neg_lo:[1,0,0] neg_hi:[1,0,0]
	v_pk_fma_f32 v[18:19], v[38:39], s[14:15], v[2:3]
	v_pk_mul_f32 v[8:9], v[40:41], s[48:49]
	v_mov_b32_e32 v23, v19
	s_mov_b32 s48, 0x3e3c28d5
	s_mov_b32 s43, s16
	v_pk_add_f32 v[24:25], v[22:23], v[20:21]
	v_pk_mul_f32 v[22:23], v[46:47], s[48:49] op_sel_hi:[1,0]
	v_mov_b32_e32 v80, v71
	v_pk_fma_f32 v[20:21], v[44:45], s[42:43], v[22:23] op_sel:[0,0,1] op_sel_hi:[1,0,0] neg_lo:[0,0,1] neg_hi:[0,0,1]
	v_pk_fma_f32 v[22:23], v[44:45], s[42:43], v[22:23] op_sel:[0,0,1] op_sel_hi:[1,0,0]
	v_mov_b32_e32 v81, v70
	s_mov_b32 s39, s26
	s_mov_b32 s27, s38
	v_mov_b32_e32 v26, v20
	v_mov_b32_e32 v27, v23
	v_pk_mul_f32 v[32:33], v[48:49], s[38:39]
	s_mov_b32 s39, s20
	v_pk_add_f32 v[28:29], v[26:27], v[24:25]
	v_pk_mul_f32 v[26:27], v[80:81], s[26:27] op_sel_hi:[1,0]
	v_mov_b32_e32 v78, v73
	v_pk_fma_f32 v[24:25], v[42:43], s[38:39], v[26:27] op_sel_hi:[1,0,1] neg_lo:[0,0,1] neg_hi:[0,0,1]
	v_pk_fma_f32 v[26:27], v[42:43], s[38:39], v[26:27] op_sel_hi:[1,0,1]
	v_mov_b32_e32 v79, v72
	v_mov_b32_e32 v30, v24
	;; [unrolled: 1-line block ×3, first 2 shown]
	s_mov_b32 s52, 0x3f2c7751
	v_pk_add_f32 v[34:35], v[30:31], v[28:29]
	s_mov_b32 s50, s41
	v_pk_mul_f32 v[30:31], v[78:79], s[52:53] op_sel_hi:[1,0]
	v_mov_b32_e32 v76, v75
	v_pk_fma_f32 v[28:29], v[50:51], s[50:51], v[30:31] op_sel_hi:[1,0,1] neg_lo:[0,0,1] neg_hi:[0,0,1]
	v_pk_fma_f32 v[30:31], v[50:51], s[50:51], v[30:31] op_sel_hi:[1,0,1]
	v_mov_b32_e32 v77, v74
	v_mov_b32_e32 v58, v28
	;; [unrolled: 1-line block ×3, first 2 shown]
	v_pk_add_f32 v[60:61], v[58:59], v[34:35]
	s_mov_b32 s54, s25
	v_pk_mul_f32 v[58:59], v[76:77], s[24:25] op_sel_hi:[1,0]
	v_mov_b32_e32 v74, v143
	v_pk_fma_f32 v[34:35], v[52:53], s[54:55], v[58:59] op_sel_hi:[1,0,1] neg_lo:[0,0,1] neg_hi:[0,0,1]
	v_pk_fma_f32 v[58:59], v[52:53], s[54:55], v[58:59] op_sel_hi:[1,0,1]
	v_mov_b32_e32 v75, v142
	v_mov_b32_e32 v62, v34
	;; [unrolled: 1-line block ×3, first 2 shown]
	v_pk_add_f32 v[64:65], v[62:63], v[60:61]
	s_mov_b32 s48, s1
	v_pk_mul_f32 v[62:63], v[74:75], s[0:1] op_sel_hi:[1,0]
	v_mov_b32_e32 v72, v145
	v_pk_fma_f32 v[60:61], v[54:55], s[48:49], v[62:63] op_sel_hi:[1,0,1] neg_lo:[0,0,1] neg_hi:[0,0,1]
	v_pk_fma_f32 v[62:63], v[54:55], s[48:49], v[62:63] op_sel_hi:[1,0,1]
	v_mov_b32_e32 v73, v144
	s_mov_b32 s45, s34
	s_mov_b32 s35, s44
	v_mov_b32_e32 v66, v60
	v_mov_b32_e32 v67, v63
	v_pk_mul_f32 v[70:71], v[40:41], s[44:45]
	s_mov_b32 s45, s22
	v_pk_add_f32 v[84:85], v[66:67], v[64:65]
	v_pk_mul_f32 v[66:67], v[72:73], s[34:35] op_sel_hi:[1,0]
	s_mov_b32 s17, s42
	v_pk_fma_f32 v[64:65], v[56:57], s[44:45], v[66:67] op_sel_hi:[1,0,1] neg_lo:[0,0,1] neg_hi:[0,0,1]
	v_pk_fma_f32 v[66:67], v[56:57], s[44:45], v[66:67] op_sel_hi:[1,0,1]
	v_mov_b32_e32 v86, v64
	v_mov_b32_e32 v87, v67
	v_pk_add_f32 v[84:85], v[86:87], v[84:85]
	ds_write2_b64 v101, v[82:83], v[84:85] offset0:2 offset1:3
	v_pk_fma_f32 v[84:85], v[36:37], s[0:1], v[8:9] neg_lo:[1,0,0] neg_hi:[1,0,0]
	v_pk_fma_f32 v[82:83], v[36:37], s[0:1], v[8:9]
	v_pk_mul_f32 v[6:7], v[48:49], s[42:43]
	v_mov_b32_e32 v85, v83
	v_pk_add_f32 v[86:87], v[84:85], v[0:1]
	v_pk_fma_f32 v[88:89], v[106:107], s[16:17], v[6:7] neg_lo:[1,0,0] neg_hi:[1,0,0]
	v_pk_fma_f32 v[84:85], v[38:39], s[16:17], v[6:7]
	s_mov_b32 s47, s25
	v_mov_b32_e32 v89, v85
	v_pk_add_f32 v[90:91], v[88:89], v[86:87]
	v_pk_mul_f32 v[88:89], v[46:47], s[26:27] op_sel_hi:[1,0]
	s_mov_b32 s58, 0x3f4c4adb
	v_pk_fma_f32 v[86:87], v[44:45], s[38:39], v[88:89] op_sel:[0,0,1] op_sel_hi:[1,0,0] neg_lo:[0,0,1] neg_hi:[0,0,1]
	v_pk_fma_f32 v[88:89], v[44:45], s[38:39], v[88:89] op_sel:[0,0,1] op_sel_hi:[1,0,0]
	v_mov_b32_e32 v92, v86
	v_mov_b32_e32 v93, v89
	v_pk_add_f32 v[94:95], v[92:93], v[90:91]
	v_pk_mul_f32 v[92:93], v[80:81], s[46:47] op_sel_hi:[1,0]
	v_pk_mul_f32 v[10:11], v[40:41], s[38:39]
	v_pk_fma_f32 v[90:91], v[42:43], s[54:55], v[92:93] op_sel_hi:[1,0,1] neg_lo:[0,0,1] neg_hi:[0,0,1]
	v_pk_fma_f32 v[92:93], v[42:43], s[54:55], v[92:93] op_sel_hi:[1,0,1]
	v_mov_b32_e32 v96, v90
	v_mov_b32_e32 v97, v93
	v_pk_add_f32 v[98:99], v[96:97], v[94:95]
	v_pk_mul_f32 v[96:97], v[78:79], s[6:7] op_sel_hi:[1,0]
	s_mov_b32 s21, s38
	v_pk_fma_f32 v[94:95], v[50:51], s[28:29], v[96:97] op_sel_hi:[1,0,1] neg_lo:[0,0,1] neg_hi:[0,0,1]
	v_pk_fma_f32 v[96:97], v[50:51], s[28:29], v[96:97] op_sel_hi:[1,0,1]
	v_mov_b32_e32 v104, v94
	v_mov_b32_e32 v105, v97
	v_pk_add_f32 v[108:109], v[104:105], v[98:99]
	v_pk_mul_f32 v[104:105], v[76:77], s[34:35] op_sel_hi:[1,0]
	s_mov_b32 s23, s44
	v_pk_fma_f32 v[98:99], v[52:53], s[44:45], v[104:105] op_sel_hi:[1,0,1] neg_lo:[0,0,1] neg_hi:[0,0,1]
	v_pk_fma_f32 v[104:105], v[52:53], s[44:45], v[104:105] op_sel_hi:[1,0,1]
	v_mov_b32_e32 v110, v98
	v_mov_b32_e32 v111, v105
	v_pk_add_f32 v[112:113], v[110:111], v[108:109]
	v_pk_mul_f32 v[110:111], v[74:75], s[58:59] op_sel_hi:[1,0]
	v_pk_mul_f32 v[120:121], v[48:49], s[44:45]
	v_pk_fma_f32 v[108:109], v[54:55], s[30:31], v[110:111] op_sel_hi:[1,0,1] neg_lo:[0,0,1] neg_hi:[0,0,1]
	v_pk_fma_f32 v[110:111], v[54:55], s[30:31], v[110:111] op_sel_hi:[1,0,1]
	v_mov_b32_e32 v114, v108
	v_mov_b32_e32 v115, v111
	v_pk_add_f32 v[116:117], v[114:115], v[112:113]
	v_pk_mul_f32 v[114:115], v[72:73], s[52:53] op_sel_hi:[1,0]
	v_pk_fma_f32 v[124:125], v[106:107], s[22:23], v[120:121] neg_lo:[1,0,0] neg_hi:[1,0,0]
	v_pk_fma_f32 v[112:113], v[56:57], s[50:51], v[114:115] op_sel_hi:[1,0,1] neg_lo:[0,0,1] neg_hi:[0,0,1]
	v_pk_fma_f32 v[114:115], v[56:57], s[50:51], v[114:115] op_sel_hi:[1,0,1]
	v_mov_b32_e32 v118, v112
	v_mov_b32_e32 v119, v115
	v_pk_add_f32 v[148:149], v[118:119], v[116:117]
	v_pk_fma_f32 v[118:119], v[36:37], s[20:21], v[10:11] neg_lo:[1,0,0] neg_hi:[1,0,0]
	v_pk_fma_f32 v[116:117], v[36:37], s[20:21], v[10:11]
	s_mov_b32 s56, 0x3f7ee86f
	v_mov_b32_e32 v119, v117
	v_pk_add_f32 v[122:123], v[118:119], v[0:1]
	v_pk_fma_f32 v[118:119], v[38:39], s[22:23], v[120:121]
	v_pk_fma_f32 v[154:155], v[106:107], s[26:27], v[32:33] neg_lo:[1,0,0] neg_hi:[1,0,0]
	v_mov_b32_e32 v125, v119
	v_pk_add_f32 v[126:127], v[124:125], v[122:123]
	v_pk_mul_f32 v[124:125], v[46:47], s[52:53] op_sel_hi:[1,0]
	v_pk_fma_f32 v[156:157], v[38:39], s[26:27], v[32:33]
	v_pk_fma_f32 v[122:123], v[44:45], s[50:51], v[124:125] op_sel:[0,0,1] op_sel_hi:[1,0,0] neg_lo:[0,0,1] neg_hi:[0,0,1]
	v_pk_fma_f32 v[124:125], v[44:45], s[50:51], v[124:125] op_sel:[0,0,1] op_sel_hi:[1,0,0]
	v_mov_b32_e32 v128, v122
	v_mov_b32_e32 v129, v125
	v_pk_add_f32 v[130:131], v[128:129], v[126:127]
	v_pk_mul_f32 v[128:129], v[80:81], s[6:7] op_sel_hi:[1,0]
	v_mov_b32_e32 v155, v157
	v_pk_fma_f32 v[126:127], v[42:43], s[28:29], v[128:129] op_sel_hi:[1,0,1] neg_lo:[0,0,1] neg_hi:[0,0,1]
	v_pk_fma_f32 v[128:129], v[42:43], s[28:29], v[128:129] op_sel_hi:[1,0,1]
	v_mov_b32_e32 v132, v126
	v_mov_b32_e32 v133, v129
	v_pk_add_f32 v[134:135], v[132:133], v[130:131]
	v_pk_mul_f32 v[132:133], v[78:79], s[16:17] op_sel_hi:[1,0]
	s_mov_b32 s37, s28
	v_pk_fma_f32 v[130:131], v[50:51], s[42:43], v[132:133] op_sel_hi:[1,0,1] neg_lo:[0,0,1] neg_hi:[0,0,1]
	v_pk_fma_f32 v[132:133], v[50:51], s[42:43], v[132:133] op_sel_hi:[1,0,1]
	v_mov_b32_e32 v136, v130
	v_mov_b32_e32 v137, v133
	v_pk_add_f32 v[138:139], v[136:137], v[134:135]
	v_pk_mul_f32 v[136:137], v[76:77], s[56:57] op_sel_hi:[1,0]
	v_pk_fma_f32 v[184:185], v[36:37], s[34:35], v[70:71]
	v_pk_fma_f32 v[134:135], v[52:53], s[48:49], v[136:137] op_sel_hi:[1,0,1] neg_lo:[0,0,1] neg_hi:[0,0,1]
	v_pk_fma_f32 v[136:137], v[52:53], s[48:49], v[136:137] op_sel_hi:[1,0,1]
	v_mov_b32_e32 v140, v134
	v_mov_b32_e32 v141, v137
	v_pk_add_f32 v[142:143], v[140:141], v[138:139]
	v_pk_mul_f32 v[140:141], v[74:75], s[24:25] op_sel_hi:[1,0]
	v_pk_fma_f32 v[186:187], v[106:107], s[36:37], v[68:69] neg_lo:[1,0,0] neg_hi:[1,0,0]
	v_pk_fma_f32 v[138:139], v[54:55], s[54:55], v[140:141] op_sel_hi:[1,0,1] neg_lo:[0,0,1] neg_hi:[0,0,1]
	v_pk_fma_f32 v[140:141], v[54:55], s[54:55], v[140:141] op_sel_hi:[1,0,1]
	v_mov_b32_e32 v144, v138
	v_mov_b32_e32 v145, v141
	v_pk_add_f32 v[150:151], v[144:145], v[142:143]
	v_pk_mul_f32 v[144:145], v[72:73], s[14:15] op_sel_hi:[1,0]
	v_pk_fma_f32 v[188:189], v[38:39], s[36:37], v[68:69]
	v_pk_fma_f32 v[142:143], v[56:57], s[30:31], v[144:145] op_sel_hi:[1,0,1] neg_lo:[0,0,1] neg_hi:[0,0,1]
	v_pk_fma_f32 v[144:145], v[56:57], s[30:31], v[144:145] op_sel_hi:[1,0,1]
	v_mov_b32_e32 v152, v142
	v_mov_b32_e32 v153, v145
	v_pk_add_f32 v[150:151], v[152:153], v[150:151]
	ds_write2_b64 v101, v[148:149], v[150:151] offset0:4 offset1:5
	v_pk_mul_f32 v[148:149], v[40:41], s[30:31]
	v_mov_b32_e32 v187, v189
	v_pk_fma_f32 v[150:151], v[36:37], s[14:15], v[148:149] neg_lo:[1,0,0] neg_hi:[1,0,0]
	v_pk_fma_f32 v[152:153], v[36:37], s[14:15], v[148:149]
	v_pk_mul_f32 v[40:41], v[40:41], s[42:43]
	v_mov_b32_e32 v151, v153
	v_pk_add_f32 v[150:151], v[150:151], v[0:1]
	v_pk_fma_f32 v[32:33], v[38:39], s[26:27], v[32:33] neg_lo:[0,0,1] neg_hi:[0,0,1]
	v_pk_add_f32 v[150:151], v[154:155], v[150:151]
	v_pk_mul_f32 v[154:155], v[46:47], s[24:25] op_sel_hi:[1,0]
	v_mov_b32_e32 v157, v33
	v_pk_fma_f32 v[158:159], v[44:45], s[54:55], v[154:155] op_sel:[0,0,1] op_sel_hi:[1,0,0] neg_lo:[0,0,1] neg_hi:[0,0,1]
	v_pk_fma_f32 v[154:155], v[44:45], s[54:55], v[154:155] op_sel:[0,0,1] op_sel_hi:[1,0,0]
	v_mov_b32_e32 v160, v158
	v_mov_b32_e32 v161, v155
	v_pk_add_f32 v[150:151], v[160:161], v[150:151]
	v_pk_mul_f32 v[160:161], v[80:81], s[34:35] op_sel_hi:[1,0]
	v_mov_b32_e32 v155, v159
	v_pk_fma_f32 v[162:163], v[42:43], s[44:45], v[160:161] op_sel_hi:[1,0,1] neg_lo:[0,0,1] neg_hi:[0,0,1]
	v_pk_fma_f32 v[160:161], v[42:43], s[44:45], v[160:161] op_sel_hi:[1,0,1]
	v_mov_b32_e32 v164, v162
	v_mov_b32_e32 v165, v161
	v_pk_add_f32 v[150:151], v[164:165], v[150:151]
	v_pk_mul_f32 v[164:165], v[78:79], s[56:57] op_sel_hi:[1,0]
	v_mov_b32_e32 v161, v163
	v_pk_fma_f32 v[166:167], v[50:51], s[48:49], v[164:165] op_sel_hi:[1,0,1] neg_lo:[0,0,1] neg_hi:[0,0,1]
	v_pk_fma_f32 v[164:165], v[50:51], s[48:49], v[164:165] op_sel_hi:[1,0,1]
	;; [unrolled: 7-line block ×5, first 2 shown]
	v_mov_b32_e32 v182, v180
	v_mov_b32_e32 v183, v179
	v_pk_add_f32 v[150:151], v[182:183], v[150:151]
	v_pk_fma_f32 v[182:183], v[36:37], s[34:35], v[70:71] neg_lo:[1,0,0] neg_hi:[1,0,0]
	v_mov_b32_e32 v179, v181
	v_mov_b32_e32 v183, v185
	v_pk_add_f32 v[182:183], v[182:183], v[0:1]
	v_pk_fma_f32 v[10:11], v[36:37], s[20:21], v[10:11] neg_lo:[0,0,1] neg_hi:[0,0,1]
	v_pk_add_f32 v[182:183], v[186:187], v[182:183]
	v_pk_mul_f32 v[186:187], v[46:47], s[0:1] op_sel_hi:[1,0]
	v_pk_mul_f32 v[46:47], v[46:47], s[34:35] op_sel_hi:[1,0]
	v_pk_fma_f32 v[190:191], v[44:45], s[48:49], v[186:187] op_sel:[0,0,1] op_sel_hi:[1,0,0] neg_lo:[0,0,1] neg_hi:[0,0,1]
	v_pk_fma_f32 v[186:187], v[44:45], s[48:49], v[186:187] op_sel:[0,0,1] op_sel_hi:[1,0,0]
	v_mov_b32_e32 v192, v190
	v_mov_b32_e32 v193, v187
	v_pk_add_f32 v[182:183], v[192:193], v[182:183]
	v_pk_mul_f32 v[192:193], v[80:81], s[58:59] op_sel_hi:[1,0]
	v_pk_mul_f32 v[80:81], v[80:81], s[52:53] op_sel_hi:[1,0]
	v_pk_fma_f32 v[194:195], v[42:43], s[30:31], v[192:193] op_sel_hi:[1,0,1] neg_lo:[0,0,1] neg_hi:[0,0,1]
	v_pk_fma_f32 v[192:193], v[42:43], s[30:31], v[192:193] op_sel_hi:[1,0,1]
	v_mov_b32_e32 v198, v194
	v_mov_b32_e32 v199, v193
	v_pk_add_f32 v[182:183], v[198:199], v[182:183]
	v_pk_mul_f32 v[198:199], v[78:79], s[24:25] op_sel_hi:[1,0]
	s_mov_b32 s24, s25
	v_pk_fma_f32 v[200:201], v[50:51], s[54:55], v[198:199] op_sel_hi:[1,0,1] neg_lo:[0,0,1] neg_hi:[0,0,1]
	v_pk_fma_f32 v[198:199], v[50:51], s[54:55], v[198:199] op_sel_hi:[1,0,1]
	v_mov_b32_e32 v202, v200
	v_mov_b32_e32 v203, v199
	v_pk_add_f32 v[182:183], v[202:203], v[182:183]
	v_pk_mul_f32 v[202:203], v[76:77], s[16:17] op_sel_hi:[1,0]
	s_mov_b32 s25, s46
	v_pk_fma_f32 v[204:205], v[52:53], s[42:43], v[202:203] op_sel_hi:[1,0,1] neg_lo:[0,0,1] neg_hi:[0,0,1]
	v_pk_fma_f32 v[202:203], v[52:53], s[42:43], v[202:203] op_sel_hi:[1,0,1]
	v_mov_b32_e32 v206, v204
	v_mov_b32_e32 v207, v203
	v_pk_add_f32 v[182:183], v[206:207], v[182:183]
	v_pk_mul_f32 v[206:207], v[74:75], s[52:53] op_sel_hi:[1,0]
	v_pk_mul_f32 v[48:49], v[48:49], s[24:25]
	v_pk_fma_f32 v[208:209], v[54:55], s[50:51], v[206:207] op_sel_hi:[1,0,1] neg_lo:[0,0,1] neg_hi:[0,0,1]
	v_pk_fma_f32 v[206:207], v[54:55], s[50:51], v[206:207] op_sel_hi:[1,0,1]
	v_mov_b32_e32 v210, v208
	v_mov_b32_e32 v211, v207
	v_pk_add_f32 v[182:183], v[210:211], v[182:183]
	v_pk_mul_f32 v[210:211], v[72:73], s[20:21] op_sel_hi:[1,0]
	v_pk_fma_f32 v[106:107], v[106:107], s[46:47], v[48:49] neg_lo:[1,0,0] neg_hi:[1,0,0]
	v_pk_fma_f32 v[212:213], v[56:57], s[38:39], v[210:211] op_sel_hi:[1,0,1] neg_lo:[0,0,1] neg_hi:[0,0,1]
	v_pk_fma_f32 v[210:211], v[56:57], s[38:39], v[210:211] op_sel_hi:[1,0,1]
	v_mov_b32_e32 v214, v212
	v_mov_b32_e32 v215, v211
	v_pk_add_f32 v[182:183], v[214:215], v[182:183]
	ds_write2_b64 v101, v[150:151], v[182:183] offset0:6 offset1:7
	v_pk_fma_f32 v[150:151], v[36:37], s[16:17], v[40:41] neg_lo:[1,0,0] neg_hi:[1,0,0]
	v_pk_fma_f32 v[182:183], v[36:37], s[16:17], v[40:41]
	v_pk_fma_f32 v[214:215], v[38:39], s[46:47], v[48:49]
	v_mov_b32_e32 v151, v183
	v_pk_add_f32 v[150:151], v[150:151], v[0:1]
	v_mov_b32_e32 v107, v215
	v_pk_add_f32 v[106:107], v[106:107], v[150:151]
	v_pk_fma_f32 v[150:151], v[44:45], s[44:45], v[46:47] op_sel:[0,0,1] op_sel_hi:[1,0,0] neg_lo:[0,0,1] neg_hi:[0,0,1]
	v_pk_fma_f32 v[44:45], v[44:45], s[44:45], v[46:47] op_sel:[0,0,1] op_sel_hi:[1,0,0]
	v_mov_b32_e32 v46, v150
	v_mov_b32_e32 v47, v45
	v_pk_add_f32 v[46:47], v[46:47], v[106:107]
	v_pk_fma_f32 v[106:107], v[42:43], s[50:51], v[80:81] op_sel_hi:[1,0,1] neg_lo:[0,0,1] neg_hi:[0,0,1]
	v_pk_fma_f32 v[42:43], v[42:43], s[50:51], v[80:81] op_sel_hi:[1,0,1]
	v_mov_b32_e32 v80, v106
	v_mov_b32_e32 v81, v43
	v_pk_mul_f32 v[78:79], v[78:79], s[14:15] op_sel_hi:[1,0]
	v_pk_fma_f32 v[40:41], v[36:37], s[16:17], v[40:41] neg_lo:[0,0,1] neg_hi:[0,0,1]
	v_pk_add_f32 v[46:47], v[80:81], v[46:47]
	v_pk_fma_f32 v[80:81], v[50:51], s[30:31], v[78:79] op_sel_hi:[1,0,1] neg_lo:[0,0,1] neg_hi:[0,0,1]
	v_pk_fma_f32 v[50:51], v[50:51], s[30:31], v[78:79] op_sel_hi:[1,0,1]
	v_mov_b32_e32 v183, v41
	v_pk_fma_f32 v[40:41], v[38:39], s[46:47], v[48:49] neg_lo:[0,0,1] neg_hi:[0,0,1]
	v_mov_b32_e32 v78, v80
	v_mov_b32_e32 v79, v51
	v_pk_mul_f32 v[76:77], v[76:77], s[36:37] op_sel_hi:[1,0]
	v_mov_b32_e32 v215, v41
	v_pk_add_f32 v[40:41], v[182:183], v[0:1]
	v_pk_add_f32 v[46:47], v[78:79], v[46:47]
	v_pk_fma_f32 v[78:79], v[52:53], s[28:29], v[76:77] op_sel_hi:[1,0,1] neg_lo:[0,0,1] neg_hi:[0,0,1]
	v_pk_fma_f32 v[52:53], v[52:53], s[28:29], v[76:77] op_sel_hi:[1,0,1]
	v_pk_add_f32 v[40:41], v[214:215], v[40:41]
	v_mov_b32_e32 v45, v151
	v_mov_b32_e32 v76, v78
	;; [unrolled: 1-line block ×3, first 2 shown]
	v_pk_mul_f32 v[74:75], v[74:75], s[20:21] op_sel_hi:[1,0]
	v_pk_add_f32 v[40:41], v[44:45], v[40:41]
	v_mov_b32_e32 v43, v107
	v_pk_add_f32 v[46:47], v[76:77], v[46:47]
	v_pk_fma_f32 v[76:77], v[54:55], s[38:39], v[74:75] op_sel_hi:[1,0,1] neg_lo:[0,0,1] neg_hi:[0,0,1]
	v_pk_fma_f32 v[54:55], v[54:55], s[38:39], v[74:75] op_sel_hi:[1,0,1]
	v_pk_add_f32 v[40:41], v[42:43], v[40:41]
	v_mov_b32_e32 v51, v81
	v_mov_b32_e32 v74, v76
	;; [unrolled: 1-line block ×3, first 2 shown]
	v_pk_mul_f32 v[72:73], v[72:73], s[56:57] op_sel_hi:[1,0]
	v_pk_add_f32 v[40:41], v[50:51], v[40:41]
	v_mov_b32_e32 v53, v79
	v_pk_add_f32 v[46:47], v[74:75], v[46:47]
	v_pk_fma_f32 v[74:75], v[56:57], s[48:49], v[72:73] op_sel_hi:[1,0,1] neg_lo:[0,0,1] neg_hi:[0,0,1]
	v_pk_fma_f32 v[56:57], v[56:57], s[48:49], v[72:73] op_sel_hi:[1,0,1]
	v_pk_add_f32 v[40:41], v[52:53], v[40:41]
	v_mov_b32_e32 v55, v77
	v_mov_b32_e32 v72, v74
	;; [unrolled: 1-line block ×3, first 2 shown]
	v_pk_add_f32 v[40:41], v[54:55], v[40:41]
	v_mov_b32_e32 v57, v75
	v_pk_add_f32 v[46:47], v[72:73], v[46:47]
	v_pk_add_f32 v[40:41], v[56:57], v[40:41]
	ds_write2_b64 v101, v[46:47], v[40:41] offset0:8 offset1:9
	v_pk_fma_f32 v[40:41], v[36:37], s[34:35], v[70:71] neg_lo:[0,0,1] neg_hi:[0,0,1]
	v_pk_fma_f32 v[42:43], v[36:37], s[14:15], v[148:149] neg_lo:[0,0,1] neg_hi:[0,0,1]
	v_mov_b32_e32 v185, v41
	v_pk_fma_f32 v[40:41], v[38:39], s[36:37], v[68:69] neg_lo:[0,0,1] neg_hi:[0,0,1]
	v_mov_b32_e32 v153, v43
	v_mov_b32_e32 v189, v41
	v_pk_add_f32 v[40:41], v[184:185], v[0:1]
	v_pk_add_f32 v[32:33], v[152:153], v[0:1]
	;; [unrolled: 1-line block ×3, first 2 shown]
	v_mov_b32_e32 v187, v191
	v_pk_add_f32 v[32:33], v[156:157], v[32:33]
	v_pk_add_f32 v[40:41], v[186:187], v[40:41]
	v_mov_b32_e32 v193, v195
	v_pk_add_f32 v[32:33], v[154:155], v[32:33]
	v_pk_add_f32 v[40:41], v[192:193], v[40:41]
	v_mov_b32_e32 v199, v201
	v_pk_add_f32 v[32:33], v[160:161], v[32:33]
	v_pk_add_f32 v[40:41], v[198:199], v[40:41]
	v_mov_b32_e32 v203, v205
	v_pk_add_f32 v[32:33], v[164:165], v[32:33]
	v_pk_add_f32 v[40:41], v[202:203], v[40:41]
	v_mov_b32_e32 v207, v209
	v_pk_add_f32 v[32:33], v[168:169], v[32:33]
	v_pk_add_f32 v[40:41], v[206:207], v[40:41]
	v_mov_b32_e32 v211, v213
	v_pk_add_f32 v[32:33], v[172:173], v[32:33]
	v_pk_add_f32 v[40:41], v[210:211], v[40:41]
	v_pk_add_f32 v[32:33], v[178:179], v[32:33]
	v_pk_fma_f32 v[8:9], v[36:37], s[0:1], v[8:9] neg_lo:[0,0,1] neg_hi:[0,0,1]
	v_pk_fma_f32 v[4:5], v[36:37], s[6:7], v[4:5] neg_lo:[0,0,1] neg_hi:[0,0,1]
	ds_write2_b64 v101, v[40:41], v[32:33] offset0:10 offset1:11
	v_mov_b32_e32 v117, v11
	v_pk_fma_f32 v[32:33], v[38:39], s[22:23], v[120:121] neg_lo:[0,0,1] neg_hi:[0,0,1]
	v_mov_b32_e32 v83, v9
	v_pk_fma_f32 v[6:7], v[38:39], s[16:17], v[6:7] neg_lo:[0,0,1] neg_hi:[0,0,1]
	v_mov_b32_e32 v17, v5
	v_pk_fma_f32 v[2:3], v[38:39], s[14:15], v[2:3] neg_lo:[0,0,1] neg_hi:[0,0,1]
	v_pk_add_f32 v[10:11], v[116:117], v[0:1]
	v_mov_b32_e32 v119, v33
	v_pk_add_f32 v[8:9], v[82:83], v[0:1]
	v_mov_b32_e32 v85, v7
	;; [unrolled: 2-line block ×21, first 2 shown]
	v_pk_add_f32 v[10:11], v[144:145], v[10:11]
	v_pk_add_f32 v[6:7], v[114:115], v[6:7]
	;; [unrolled: 1-line block ×3, first 2 shown]
	ds_write2_b64 v101, v[10:11], v[6:7] offset0:12 offset1:13
	ds_write2_b64 v101, v[0:1], v[12:13] offset0:14 offset1:15
	ds_write_b64 v101, v[14:15] offset:128
.LBB0_7:
	s_or_b64 exec, exec, s[18:19]
	s_mov_b64 s[0:1], 0xff
	v_lshl_add_u64 v[0:1], v[218:219], 0, s[0:1]
	s_mov_b64 s[0:1], 0x154
	v_lshl_add_u64 v[2:3], v[218:219], 0, s[0:1]
	s_mov_b32 s0, 0xf0f1
	v_mul_u32_u24_sdwa v1, v0, s0 dst_sel:DWORD dst_unused:UNUSED_PAD src0_sel:WORD_0 src1_sel:DWORD
	v_lshrrev_b32_e32 v42, 20, v1
	v_mul_lo_u16_e32 v1, 17, v42
	v_sub_u16_e32 v43, v0, v1
	v_mul_u32_u24_sdwa v1, v2, s0 dst_sel:DWORD dst_unused:UNUSED_PAD src0_sel:WORD_0 src1_sel:DWORD
	v_lshrrev_b32_e32 v44, 20, v1
	v_mul_lo_u16_e32 v1, 17, v44
	v_sub_u16_e32 v45, v2, v1
	v_lshlrev_b16_e32 v1, 1, v45
	v_lshlrev_b16_e32 v0, 1, v43
	v_lshlrev_b32_e32 v1, 3, v1
	s_load_dwordx4 s[4:7], s[4:5], 0x0
	s_waitcnt lgkmcnt(0)
	s_barrier
	global_load_dwordx4 v[20:23], v1, s[10:11]
	v_lshlrev_b32_e32 v0, 3, v0
	global_load_dwordx4 v[16:19], v0, s[10:11]
	s_mov_b64 s[0:1], 0xaa
	s_movk_i32 s14, 0xf1
	v_lshl_add_u64 v[48:49], v[218:219], 0, s[0:1]
	v_mul_lo_u16_sdwa v1, v48, s14 dst_sel:DWORD dst_unused:UNUSED_PAD src0_sel:BYTE_0 src1_sel:DWORD
	v_lshrrev_b16_e32 v46, 12, v1
	v_mul_lo_u16_e32 v1, 17, v46
	v_mov_b32_e32 v0, 4
	v_sub_u16_e32 v47, v48, v1
	s_mov_b64 s[0:1], 0x55
	v_lshlrev_b32_sdwa v1, v0, v47 dst_sel:DWORD dst_unused:UNUSED_PAD src0_sel:DWORD src1_sel:BYTE_0
	v_lshl_add_u64 v[56:57], v[218:219], 0, s[0:1]
	global_load_dwordx4 v[8:11], v1, s[10:11]
	v_mul_lo_u16_sdwa v1, v56, s14 dst_sel:DWORD dst_unused:UNUSED_PAD src0_sel:BYTE_0 src1_sel:DWORD
	v_lshrrev_b16_e32 v49, 12, v1
	v_mul_lo_u16_e32 v1, 17, v49
	v_sub_u16_e32 v50, v56, v1
	v_lshlrev_b32_sdwa v1, v0, v50 dst_sel:DWORD dst_unused:UNUSED_PAD src0_sel:DWORD src1_sel:BYTE_0
	global_load_dwordx4 v[4:7], v1, s[10:11]
	v_mul_lo_u16_sdwa v1, v218, s14 dst_sel:DWORD dst_unused:UNUSED_PAD src0_sel:BYTE_0 src1_sel:DWORD
	v_lshrrev_b16_e32 v51, 12, v1
	v_mul_lo_u16_e32 v1, 17, v51
	v_sub_u16_e32 v52, v218, v1
	v_lshlrev_b32_sdwa v0, v0, v52 dst_sel:DWORD dst_unused:UNUSED_PAD src0_sel:DWORD src1_sel:BYTE_0
	global_load_dwordx4 v[0:3], v0, s[10:11]
	v_add_lshl_u32 v197, v146, v218, 3
	v_add_u32_e32 v73, 0x800, v197
	v_add_u32_e32 v72, 0x1000, v197
	ds_read_b64 v[40:41], v197 offset:9520
	ds_read2_b64 v[24:27], v197 offset0:170 offset1:255
	v_add_u32_e32 v60, 0x1c00, v197
	ds_read2_b64 v[28:31], v73 offset0:84 offset1:169
	ds_read2_b64 v[32:35], v72 offset0:168 offset1:253
	ds_read2_b64 v[36:39], v60 offset0:124 offset1:209
	v_mul_u32_u24_e32 v46, 51, v46
	v_mad_legacy_u16 v42, v42, 51, v43
	v_mad_legacy_u16 v43, v44, 51, v45
	v_mul_u32_u24_e32 v51, 51, v51
	v_mul_u32_u24_e32 v49, 51, v49
	v_add_u32_sdwa v46, v46, v47 dst_sel:DWORD dst_unused:UNUSED_PAD src0_sel:DWORD src1_sel:BYTE_0
	v_add_lshl_u32 v124, v146, v42, 3
	v_add_lshl_u32 v103, v146, v43, 3
	v_add_u32_sdwa v51, v51, v52 dst_sel:DWORD dst_unused:UNUSED_PAD src0_sel:DWORD src1_sel:BYTE_0
	v_add_u32_sdwa v49, v49, v50 dst_sel:DWORD dst_unused:UNUSED_PAD src0_sel:DWORD src1_sel:BYTE_0
	v_add_lshl_u32 v125, v146, v46, 3
	v_add_lshl_u32 v128, v146, v51, 3
	s_mov_b32 s0, 0x3f5db3d7
	v_add_u32_e32 v100, 0xc00, v197
	v_add_u32_e32 v101, 0x1800, v197
	v_add_lshl_u32 v127, v146, v49, 3
	v_cmp_gt_u16_e32 vcc, 51, v218
	s_mov_b32 s14, 0x3f737871
	s_mov_b32 s16, 0x3f167918
	v_lshlrev_b32_e32 v61, 5, v56
	v_lshl_add_u32 v196, v218, 3, v176
	v_lshl_add_u32 v131, v218, 3, v176
	s_waitcnt vmcnt(4) lgkmcnt(1)
	v_pk_mul_f32 v[42:43], v[34:35], v[20:21] op_sel:[0,1]
	v_mov_b32_e32 v44, v23
	s_waitcnt vmcnt(3)
	v_pk_mul_f32 v[46:47], v[32:33], v[16:17] op_sel:[0,1]
	v_mov_b32_e32 v50, v19
	v_pk_fma_f32 v[52:53], v[34:35], v[20:21], v[42:43] op_sel:[0,0,1] op_sel_hi:[1,1,0] neg_lo:[0,0,1] neg_hi:[0,0,1]
	v_pk_fma_f32 v[34:35], v[34:35], v[20:21], v[42:43] op_sel:[0,0,1] op_sel_hi:[1,0,0]
	v_pk_mul_f32 v[42:43], v[40:41], v[44:45] op_sel_hi:[1,0]
	v_pk_fma_f32 v[44:45], v[32:33], v[16:17], v[46:47] op_sel:[0,0,1] op_sel_hi:[1,1,0] neg_lo:[0,0,1] neg_hi:[0,0,1]
	v_pk_fma_f32 v[32:33], v[32:33], v[16:17], v[46:47] op_sel:[0,0,1] op_sel_hi:[1,0,0]
	s_waitcnt lgkmcnt(0)
	v_pk_mul_f32 v[46:47], v[38:39], v[50:51] op_sel_hi:[1,0]
	v_mov_b32_e32 v53, v35
	v_pk_fma_f32 v[50:51], v[40:41], v[22:23], v[42:43] op_sel:[0,0,1] op_sel_hi:[1,1,0] neg_lo:[0,0,1] neg_hi:[0,0,1]
	v_pk_fma_f32 v[34:35], v[40:41], v[22:23], v[42:43] op_sel:[0,0,1] op_sel_hi:[1,0,0]
	v_mov_b32_e32 v45, v33
	v_mov_b32_e32 v51, v35
	v_pk_add_f32 v[32:33], v[52:53], v[50:51]
	v_pk_add_f32 v[34:35], v[52:53], v[50:51] neg_lo:[0,1] neg_hi:[0,1]
	v_pk_fma_f32 v[32:33], v[32:33], 0.5, v[28:29] op_sel_hi:[1,0,1] neg_lo:[1,0,0] neg_hi:[1,0,0]
	v_pk_mul_f32 v[34:35], v[34:35], s[0:1] op_sel_hi:[1,0]
	v_pk_fma_f32 v[58:59], v[38:39], v[18:19], v[46:47] op_sel:[0,0,1] op_sel_hi:[1,1,0] neg_lo:[0,0,1] neg_hi:[0,0,1]
	v_pk_add_f32 v[42:43], v[32:33], v[34:35] op_sel:[0,1] op_sel_hi:[1,0] neg_lo:[0,1] neg_hi:[0,1]
	v_pk_add_f32 v[54:55], v[32:33], v[34:35] op_sel:[0,1] op_sel_hi:[1,0]
	v_pk_fma_f32 v[32:33], v[38:39], v[18:19], v[46:47] op_sel:[0,0,1] op_sel_hi:[1,0,0]
	s_nop 0
	v_mov_b32_e32 v59, v33
	v_pk_add_f32 v[32:33], v[44:45], v[58:59]
	v_pk_add_f32 v[40:41], v[44:45], v[58:59] neg_lo:[0,1] neg_hi:[0,1]
	v_pk_fma_f32 v[38:39], v[32:33], 0.5, v[26:27] op_sel_hi:[1,0,1] neg_lo:[1,0,0] neg_hi:[1,0,0]
	ds_read2_b64 v[32:35], v100 offset0:126 offset1:211
	v_pk_mul_f32 v[40:41], v[40:41], s[0:1] op_sel_hi:[1,0]
	s_waitcnt vmcnt(1) lgkmcnt(0)
	v_pk_mul_f32 v[70:71], v[32:33], v[4:5] op_sel:[0,1]
	v_pk_add_f32 v[46:47], v[38:39], v[40:41] op_sel:[0,1] op_sel_hi:[1,0] neg_lo:[0,1] neg_hi:[0,1]
	v_pk_add_f32 v[62:63], v[38:39], v[40:41] op_sel:[0,1] op_sel_hi:[1,0]
	v_pk_mul_f32 v[38:39], v[34:35], v[8:9] op_sel:[0,1]
	v_pk_fma_f32 v[74:75], v[32:33], v[4:5], v[70:71] op_sel:[0,0,1] op_sel_hi:[1,1,0] neg_lo:[0,0,1] neg_hi:[0,0,1]
	v_pk_fma_f32 v[64:65], v[34:35], v[8:9], v[38:39] op_sel:[0,0,1] op_sel_hi:[1,1,0] neg_lo:[0,0,1] neg_hi:[0,0,1]
	v_pk_fma_f32 v[34:35], v[34:35], v[8:9], v[38:39] op_sel:[0,0,1] op_sel_hi:[1,0,0]
	ds_read2_b64 v[38:41], v101 offset0:82 offset1:167
	v_pk_fma_f32 v[32:33], v[32:33], v[4:5], v[70:71] op_sel:[0,0,1] op_sel_hi:[1,0,0]
	v_mov_b32_e32 v34, v11
	v_mov_b32_e32 v32, v7
	;; [unrolled: 1-line block ×3, first 2 shown]
	v_pk_mul_f32 v[34:35], v[36:37], v[34:35] op_sel_hi:[1,0]
	v_mov_b32_e32 v75, v33
	s_waitcnt lgkmcnt(0)
	v_pk_mul_f32 v[32:33], v[40:41], v[32:33] op_sel_hi:[1,0]
	v_pk_fma_f32 v[66:67], v[36:37], v[10:11], v[34:35] op_sel:[0,0,1] op_sel_hi:[1,1,0] neg_lo:[0,0,1] neg_hi:[0,0,1]
	v_pk_fma_f32 v[34:35], v[36:37], v[10:11], v[34:35] op_sel:[0,0,1] op_sel_hi:[1,0,0]
	v_pk_fma_f32 v[70:71], v[40:41], v[6:7], v[32:33] op_sel:[0,0,1] op_sel_hi:[1,1,0] neg_lo:[0,0,1] neg_hi:[0,0,1]
	v_pk_fma_f32 v[32:33], v[40:41], v[6:7], v[32:33] op_sel:[0,0,1] op_sel_hi:[1,0,0]
	s_waitcnt vmcnt(0)
	v_pk_mul_f32 v[40:41], v[30:31], v[0:1] op_sel:[0,1]
	v_mov_b32_e32 v67, v35
	v_pk_add_f32 v[34:35], v[24:25], v[64:65]
	v_pk_fma_f32 v[76:77], v[30:31], v[0:1], v[40:41] op_sel:[0,0,1] op_sel_hi:[1,1,0] neg_lo:[0,0,1] neg_hi:[0,0,1]
	v_pk_fma_f32 v[30:31], v[30:31], v[0:1], v[40:41] op_sel:[0,0,1] op_sel_hi:[1,0,0]
	v_pk_add_f32 v[68:69], v[34:35], v[66:67]
	ds_read2_b64 v[34:37], v197 offset1:85
	v_mov_b32_e32 v30, v3
	v_mov_b32_e32 v77, v31
	v_pk_mul_f32 v[30:31], v[38:39], v[30:31] op_sel_hi:[1,0]
	v_mov_b32_e32 v71, v33
	v_pk_fma_f32 v[40:41], v[38:39], v[2:3], v[30:31] op_sel:[0,0,1] op_sel_hi:[1,1,0] neg_lo:[0,0,1] neg_hi:[0,0,1]
	v_pk_fma_f32 v[30:31], v[38:39], v[2:3], v[30:31] op_sel:[0,0,1] op_sel_hi:[1,0,0]
	s_waitcnt lgkmcnt(0)
	v_mov_b32_e32 v41, v31
	v_pk_add_f32 v[38:39], v[76:77], v[40:41]
	v_pk_add_f32 v[30:31], v[34:35], v[76:77]
	v_pk_fma_f32 v[34:35], v[38:39], 0.5, v[34:35] op_sel_hi:[1,0,1] neg_lo:[1,0,0] neg_hi:[1,0,0]
	v_pk_add_f32 v[38:39], v[76:77], v[40:41] neg_lo:[0,1] neg_hi:[0,1]
	v_pk_add_f32 v[30:31], v[30:31], v[40:41]
	v_pk_mul_f32 v[38:39], v[38:39], s[0:1] op_sel_hi:[1,0]
	s_barrier
	v_pk_add_f32 v[40:41], v[34:35], v[38:39] op_sel:[0,1] op_sel_hi:[1,0]
	v_pk_add_f32 v[34:35], v[34:35], v[38:39] op_sel:[0,1] op_sel_hi:[1,0] neg_lo:[0,1] neg_hi:[0,1]
	v_mov_b32_e32 v38, v40
	v_mov_b32_e32 v39, v35
	v_mov_b32_e32 v35, v41
	ds_write2_b64 v128, v[30:31], v[38:39] offset1:17
	ds_write_b64 v128, v[34:35] offset:272
	v_pk_add_f32 v[30:31], v[74:75], v[70:71]
	v_pk_add_f32 v[34:35], v[74:75], v[70:71] neg_lo:[0,1] neg_hi:[0,1]
	v_pk_fma_f32 v[30:31], v[30:31], 0.5, v[36:37] op_sel_hi:[1,0,1] neg_lo:[1,0,0] neg_hi:[1,0,0]
	v_pk_mul_f32 v[34:35], v[34:35], s[0:1] op_sel_hi:[1,0]
	v_pk_add_f32 v[32:33], v[36:37], v[74:75]
	v_pk_add_f32 v[36:37], v[30:31], v[34:35] op_sel:[0,1] op_sel_hi:[1,0]
	v_pk_add_f32 v[30:31], v[30:31], v[34:35] op_sel:[0,1] op_sel_hi:[1,0] neg_lo:[0,1] neg_hi:[0,1]
	v_pk_add_f32 v[32:33], v[32:33], v[70:71]
	v_mov_b32_e32 v35, v31
	v_mov_b32_e32 v31, v37
	ds_write_b64 v127, v[30:31] offset:272
	v_pk_add_f32 v[30:31], v[64:65], v[66:67]
	v_mov_b32_e32 v34, v36
	v_pk_fma_f32 v[24:25], v[30:31], 0.5, v[24:25] op_sel_hi:[1,0,1] neg_lo:[1,0,0] neg_hi:[1,0,0]
	v_pk_add_f32 v[30:31], v[64:65], v[66:67] neg_lo:[0,1] neg_hi:[0,1]
	ds_write2_b64 v127, v[32:33], v[34:35] offset1:17
	v_pk_mul_f32 v[30:31], v[30:31], s[0:1] op_sel_hi:[1,0]
	s_movk_i32 s0, 0xa1
	v_pk_add_f32 v[32:33], v[24:25], v[30:31] op_sel:[0,1] op_sel_hi:[1,0]
	v_pk_add_f32 v[24:25], v[24:25], v[30:31] op_sel:[0,1] op_sel_hi:[1,0] neg_lo:[0,1] neg_hi:[0,1]
	v_mov_b32_e32 v30, v32
	v_mov_b32_e32 v31, v25
	v_mov_b32_e32 v25, v33
	ds_write_b64 v125, v[24:25] offset:272
	v_pk_add_f32 v[24:25], v[26:27], v[44:45]
	v_mov_b32_e32 v26, v62
	v_pk_add_f32 v[24:25], v[24:25], v[58:59]
	v_mov_b32_e32 v27, v47
	ds_write2_b64 v125, v[68:69], v[30:31] offset1:17
	ds_write2_b64 v124, v[24:25], v[26:27] offset1:17
	v_pk_add_f32 v[24:25], v[28:29], v[52:53]
	v_mov_b32_e32 v47, v63
	v_pk_add_f32 v[24:25], v[24:25], v[50:51]
	v_mov_b32_e32 v26, v54
	v_mov_b32_e32 v27, v43
	ds_write_b64 v124, v[46:47] offset:272
	ds_write2_b64 v103, v[24:25], v[26:27] offset1:17
	v_mul_lo_u16_sdwa v25, v48, s0 dst_sel:DWORD dst_unused:UNUSED_PAD src0_sel:BYTE_0 src1_sel:DWORD
	v_lshrrev_b16_e32 v49, 13, v25
	v_mul_lo_u16_e32 v25, 51, v49
	v_mov_b32_e32 v24, 5
	v_sub_u16_e32 v54, v48, v25
	v_mov_b32_e32 v43, v55
	v_lshlrev_b32_sdwa v25, v24, v54 dst_sel:DWORD dst_unused:UNUSED_PAD src0_sel:DWORD src1_sel:BYTE_0
	ds_write_b64 v103, v[42:43] offset:272
	s_waitcnt lgkmcnt(0)
	s_barrier
	global_load_dwordx4 v[44:47], v25, s[10:11] offset:272
	global_load_dwordx4 v[40:43], v25, s[10:11] offset:288
	v_mul_lo_u16_sdwa v25, v56, s0 dst_sel:DWORD dst_unused:UNUSED_PAD src0_sel:BYTE_0 src1_sel:DWORD
	v_lshrrev_b16_e32 v55, 13, v25
	v_mul_lo_u16_e32 v25, 51, v55
	v_sub_u16_e32 v57, v56, v25
	v_lshlrev_b32_sdwa v24, v24, v57 dst_sel:DWORD dst_unused:UNUSED_PAD src0_sel:DWORD src1_sel:BYTE_0
	global_load_dwordx4 v[36:39], v24, s[10:11] offset:272
	global_load_dwordx4 v[32:35], v24, s[10:11] offset:288
	s_movk_i32 s0, 0xffcd
	s_mov_b32 s1, -1
	v_lshl_add_u64 v[24:25], v[218:219], 0, s[0:1]
	v_cndmask_b32_e64 v51, v25, 0, vcc
	v_cndmask_b32_e32 v50, v24, v218, vcc
	v_lshlrev_b64 v[24:25], 5, v[50:51]
	v_lshl_add_u64 v[52:53], s[10:11], 0, v[24:25]
	global_load_dwordx4 v[28:31], v[52:53], off offset:272
	global_load_dwordx4 v[24:27], v[52:53], off offset:288
	v_mov_b32_e32 v51, 0xff
	v_cmp_lt_u16_e32 vcc, 50, v218
	v_mul_u32_u24_e32 v49, 0xff, v49
	v_add_u32_sdwa v49, v49, v54 dst_sel:DWORD dst_unused:UNUSED_PAD src0_sel:DWORD src1_sel:BYTE_0
	v_cndmask_b32_e32 v51, 0, v51, vcc
	v_add_u32_e32 v50, v50, v51
	v_add_lshl_u32 v130, v146, v50, 3
	v_mul_u32_u24_e32 v50, 0xff, v55
	v_add_u32_sdwa v50, v50, v57 dst_sel:DWORD dst_unused:UNUSED_PAD src0_sel:DWORD src1_sel:BYTE_0
	v_add_lshl_u32 v129, v146, v50, 3
	ds_read2_b64 v[50:53], v73 offset0:84 offset1:169
	ds_read2_b64 v[62:65], v197 offset0:170 offset1:255
	;; [unrolled: 1-line block ×4, first 2 shown]
	ds_read_b64 v[54:55], v197 offset:9520
	s_mov_b32 s0, 0x3e9e377a
	v_add_lshl_u32 v126, v146, v49, 3
	v_lshlrev_b32_e32 v57, 5, v48
	s_waitcnt vmcnt(5) lgkmcnt(4)
	v_pk_mul_f32 v[58:59], v[52:53], v[44:45] op_sel:[0,1]
	s_nop 0
	v_pk_fma_f32 v[70:71], v[52:53], v[44:45], v[58:59] op_sel:[0,0,1] op_sel_hi:[1,1,0] neg_lo:[0,0,1] neg_hi:[0,0,1]
	v_pk_fma_f32 v[52:53], v[52:53], v[44:45], v[58:59] op_sel:[0,0,1] op_sel_hi:[1,0,0]
	s_waitcnt vmcnt(3)
	v_pk_mul_f32 v[88:89], v[50:51], v[36:37] op_sel:[0,1]
	v_mov_b32_e32 v52, v47
	v_mov_b32_e32 v71, v53
	s_waitcnt lgkmcnt(2)
	v_pk_mul_f32 v[52:53], v[66:67], v[52:53] op_sel_hi:[1,0]
	v_pk_fma_f32 v[90:91], v[50:51], v[36:37], v[88:89] op_sel:[0,0,1] op_sel_hi:[1,1,0] neg_lo:[0,0,1] neg_hi:[0,0,1]
	v_pk_fma_f32 v[58:59], v[66:67], v[46:47], v[52:53] op_sel:[0,0,1] op_sel_hi:[1,1,0] neg_lo:[0,0,1] neg_hi:[0,0,1]
	v_pk_fma_f32 v[52:53], v[66:67], v[46:47], v[52:53] op_sel:[0,0,1] op_sel_hi:[1,0,0]
	v_pk_fma_f32 v[50:51], v[50:51], v[36:37], v[88:89] op_sel:[0,0,1] op_sel_hi:[1,0,0]
	v_mov_b32_e32 v59, v53
	s_waitcnt lgkmcnt(1)
	v_pk_mul_f32 v[52:53], v[76:77], v[40:41] op_sel:[0,1]
	v_mov_b32_e32 v50, v39
	v_pk_fma_f32 v[66:67], v[76:77], v[40:41], v[52:53] op_sel:[0,0,1] op_sel_hi:[1,1,0] neg_lo:[0,0,1] neg_hi:[0,0,1]
	v_pk_fma_f32 v[52:53], v[76:77], v[40:41], v[52:53] op_sel:[0,0,1] op_sel_hi:[1,0,0]
	v_mov_b32_e32 v91, v51
	v_mov_b32_e32 v52, v43
	;; [unrolled: 1-line block ×3, first 2 shown]
	s_waitcnt lgkmcnt(0)
	v_pk_mul_f32 v[52:53], v[54:55], v[52:53] op_sel_hi:[1,0]
	s_nop 0
	v_pk_fma_f32 v[84:85], v[54:55], v[42:43], v[52:53] op_sel:[0,0,1] op_sel_hi:[1,1,0] neg_lo:[0,0,1] neg_hi:[0,0,1]
	v_pk_fma_f32 v[52:53], v[54:55], v[42:43], v[52:53] op_sel:[0,0,1] op_sel_hi:[1,0,0]
	s_nop 0
	v_mov_b32_e32 v85, v53
	v_pk_add_f32 v[52:53], v[62:63], v[70:71]
	s_nop 0
	v_pk_add_f32 v[52:53], v[52:53], v[58:59]
	s_nop 0
	;; [unrolled: 2-line block ×3, first 2 shown]
	v_pk_add_f32 v[86:87], v[52:53], v[84:85]
	ds_read2_b64 v[52:55], v197 offset1:85
	ds_read2_b64 v[76:79], v100 offset0:126 offset1:211
	ds_read2_b64 v[80:83], v60 offset0:124 offset1:209
	s_waitcnt lgkmcnt(0)
	s_barrier
	v_pk_mul_f32 v[50:51], v[78:79], v[50:51] op_sel_hi:[1,0]
	s_nop 0
	v_pk_fma_f32 v[88:89], v[78:79], v[38:39], v[50:51] op_sel:[0,0,1] op_sel_hi:[1,1,0] neg_lo:[0,0,1] neg_hi:[0,0,1]
	v_pk_fma_f32 v[50:51], v[78:79], v[38:39], v[50:51] op_sel:[0,0,1] op_sel_hi:[1,0,0]
	s_nop 0
	v_mov_b32_e32 v89, v51
	s_waitcnt vmcnt(2)
	v_pk_mul_f32 v[50:51], v[74:75], v[32:33] op_sel:[0,1]
	s_nop 0
	v_pk_fma_f32 v[78:79], v[74:75], v[32:33], v[50:51] op_sel:[0,0,1] op_sel_hi:[1,1,0] neg_lo:[0,0,1] neg_hi:[0,0,1]
	v_pk_fma_f32 v[50:51], v[74:75], v[32:33], v[50:51] op_sel:[0,0,1] op_sel_hi:[1,0,0]
	s_nop 0
	v_mov_b32_e32 v50, v35
	v_mov_b32_e32 v79, v51
	v_pk_mul_f32 v[50:51], v[82:83], v[50:51] op_sel_hi:[1,0]
	s_nop 0
	v_pk_fma_f32 v[74:75], v[82:83], v[34:35], v[50:51] op_sel:[0,0,1] op_sel_hi:[1,1,0] neg_lo:[0,0,1] neg_hi:[0,0,1]
	v_pk_fma_f32 v[50:51], v[82:83], v[34:35], v[50:51] op_sel:[0,0,1] op_sel_hi:[1,0,0]
	s_waitcnt vmcnt(1)
	v_pk_mul_f32 v[82:83], v[64:65], v[28:29] op_sel:[0,1]
	v_mov_b32_e32 v75, v51
	v_pk_fma_f32 v[92:93], v[64:65], v[28:29], v[82:83] op_sel:[0,0,1] op_sel_hi:[1,1,0] neg_lo:[0,0,1] neg_hi:[0,0,1]
	v_pk_fma_f32 v[64:65], v[64:65], v[28:29], v[82:83] op_sel:[0,0,1] op_sel_hi:[1,0,0]
	v_pk_add_f32 v[50:51], v[54:55], v[90:91]
	v_mov_b32_e32 v64, v31
	v_mov_b32_e32 v93, v65
	v_pk_mul_f32 v[64:65], v[76:77], v[64:65] op_sel_hi:[1,0]
	v_pk_add_f32 v[50:51], v[50:51], v[88:89]
	v_pk_fma_f32 v[82:83], v[76:77], v[30:31], v[64:65] op_sel:[0,0,1] op_sel_hi:[1,1,0] neg_lo:[0,0,1] neg_hi:[0,0,1]
	v_pk_fma_f32 v[64:65], v[76:77], v[30:31], v[64:65] op_sel:[0,0,1] op_sel_hi:[1,0,0]
	v_pk_add_f32 v[50:51], v[50:51], v[78:79]
	v_mov_b32_e32 v83, v65
	s_waitcnt vmcnt(0)
	v_pk_mul_f32 v[64:65], v[68:69], v[24:25] op_sel:[0,1]
	v_pk_add_f32 v[106:107], v[92:93], v[82:83] neg_lo:[0,1] neg_hi:[0,1]
	v_pk_fma_f32 v[76:77], v[68:69], v[24:25], v[64:65] op_sel:[0,0,1] op_sel_hi:[1,1,0] neg_lo:[0,0,1] neg_hi:[0,0,1]
	v_pk_fma_f32 v[64:65], v[68:69], v[24:25], v[64:65] op_sel:[0,0,1] op_sel_hi:[1,0,0]
	v_pk_add_f32 v[50:51], v[50:51], v[74:75]
	v_mov_b32_e32 v64, v27
	v_mov_b32_e32 v77, v65
	v_pk_mul_f32 v[64:65], v[80:81], v[64:65] op_sel_hi:[1,0]
	v_pk_add_f32 v[98:99], v[82:83], v[76:77] neg_lo:[0,1] neg_hi:[0,1]
	v_pk_fma_f32 v[68:69], v[80:81], v[26:27], v[64:65] op_sel:[0,0,1] op_sel_hi:[1,1,0] neg_lo:[0,0,1] neg_hi:[0,0,1]
	v_pk_fma_f32 v[64:65], v[80:81], v[26:27], v[64:65] op_sel:[0,0,1] op_sel_hi:[1,0,0]
	v_pk_add_f32 v[80:81], v[82:83], v[76:77]
	v_mov_b32_e32 v69, v65
	v_pk_add_f32 v[94:95], v[92:93], v[68:69] neg_lo:[0,1] neg_hi:[0,1]
	v_pk_fma_f32 v[80:81], v[80:81], 0.5, v[52:53] op_sel_hi:[1,0,1] neg_lo:[1,0,0] neg_hi:[1,0,0]
	v_pk_mul_f32 v[96:97], v[94:95], s[14:15] op_sel_hi:[1,0]
	v_pk_add_f32 v[108:109], v[68:69], v[76:77] neg_lo:[0,1] neg_hi:[0,1]
	v_pk_add_f32 v[64:65], v[52:53], v[92:93]
	v_pk_mul_f32 v[104:105], v[98:99], s[16:17] op_sel_hi:[1,0]
	v_pk_add_f32 v[106:107], v[106:107], v[108:109]
	v_pk_add_f32 v[108:109], v[80:81], v[96:97] op_sel:[0,1] op_sel_hi:[1,0]
	v_pk_add_f32 v[80:81], v[80:81], v[96:97] op_sel:[0,1] op_sel_hi:[1,0] neg_lo:[0,1] neg_hi:[0,1]
	v_pk_add_f32 v[64:65], v[64:65], v[82:83]
	v_pk_add_f32 v[80:81], v[80:81], v[104:105] op_sel:[0,1] op_sel_hi:[1,0] neg_lo:[0,1] neg_hi:[0,1]
	v_pk_add_f32 v[96:97], v[108:109], v[104:105] op_sel:[0,1] op_sel_hi:[1,0]
	v_pk_add_f32 v[64:65], v[64:65], v[76:77]
	v_mov_b32_e32 v104, v96
	v_mov_b32_e32 v105, v81
	v_pk_add_f32 v[64:65], v[64:65], v[68:69]
	v_pk_fma_f32 v[104:105], v[106:107], s[0:1], v[104:105] op_sel_hi:[1,0,1]
	ds_write2_b64 v130, v[64:65], v[104:105] offset1:51
	v_pk_add_f32 v[64:65], v[92:93], v[68:69]
	v_pk_add_f32 v[68:69], v[76:77], v[68:69] neg_lo:[0,1] neg_hi:[0,1]
	v_pk_fma_f32 v[52:53], v[64:65], 0.5, v[52:53] op_sel_hi:[1,0,1] neg_lo:[1,0,0] neg_hi:[1,0,0]
	v_pk_add_f32 v[64:65], v[82:83], v[92:93] neg_lo:[0,1] neg_hi:[0,1]
	v_pk_mul_f32 v[76:77], v[94:95], s[16:17] op_sel_hi:[1,0]
	v_pk_add_f32 v[64:65], v[64:65], v[68:69]
	v_pk_mul_f32 v[68:69], v[98:99], s[14:15] op_sel_hi:[1,0]
	v_mov_b32_e32 v81, v97
	v_pk_add_f32 v[82:83], v[52:53], v[68:69] op_sel:[0,1] op_sel_hi:[1,0] neg_lo:[0,1] neg_hi:[0,1]
	v_pk_add_f32 v[52:53], v[52:53], v[68:69] op_sel:[0,1] op_sel_hi:[1,0]
	v_pk_add_f32 v[68:69], v[82:83], v[76:77] op_sel:[0,1] op_sel_hi:[1,0]
	v_pk_add_f32 v[52:53], v[52:53], v[76:77] op_sel:[0,1] op_sel_hi:[1,0] neg_lo:[0,1] neg_hi:[0,1]
	v_mov_b32_e32 v76, v68
	v_mov_b32_e32 v77, v53
	;; [unrolled: 1-line block ×3, first 2 shown]
	v_pk_fma_f32 v[76:77], v[64:65], s[0:1], v[76:77] op_sel_hi:[1,0,1]
	v_pk_fma_f32 v[52:53], v[64:65], s[0:1], v[52:53] op_sel_hi:[1,0,1]
	ds_write2_b64 v130, v[76:77], v[52:53] offset0:102 offset1:153
	v_pk_fma_f32 v[52:53], v[106:107], s[0:1], v[80:81] op_sel_hi:[1,0,1]
	ds_write_b64 v130, v[52:53] offset:1632
	v_pk_add_f32 v[52:53], v[88:89], v[78:79]
	v_pk_add_f32 v[64:65], v[90:91], v[74:75] neg_lo:[0,1] neg_hi:[0,1]
	v_pk_fma_f32 v[52:53], v[52:53], 0.5, v[54:55] op_sel_hi:[1,0,1] neg_lo:[1,0,0] neg_hi:[1,0,0]
	v_pk_mul_f32 v[68:69], v[64:65], s[14:15] op_sel_hi:[1,0]
	v_pk_add_f32 v[76:77], v[88:89], v[78:79] neg_lo:[0,1] neg_hi:[0,1]
	v_pk_add_f32 v[82:83], v[90:91], v[88:89] neg_lo:[0,1] neg_hi:[0,1]
	;; [unrolled: 1-line block ×3, first 2 shown]
	v_pk_mul_f32 v[80:81], v[76:77], s[16:17] op_sel_hi:[1,0]
	v_pk_add_f32 v[82:83], v[82:83], v[92:93]
	v_pk_add_f32 v[92:93], v[52:53], v[68:69] op_sel:[0,1] op_sel_hi:[1,0]
	v_pk_add_f32 v[52:53], v[52:53], v[68:69] op_sel:[0,1] op_sel_hi:[1,0] neg_lo:[0,1] neg_hi:[0,1]
	v_pk_add_f32 v[68:69], v[92:93], v[80:81] op_sel:[0,1] op_sel_hi:[1,0]
	v_pk_add_f32 v[52:53], v[52:53], v[80:81] op_sel:[0,1] op_sel_hi:[1,0] neg_lo:[0,1] neg_hi:[0,1]
	v_mov_b32_e32 v80, v68
	v_mov_b32_e32 v81, v53
	v_pk_fma_f32 v[80:81], v[82:83], s[0:1], v[80:81] op_sel_hi:[1,0,1]
	ds_write2_b64 v129, v[50:51], v[80:81] offset1:51
	v_pk_add_f32 v[50:51], v[90:91], v[74:75]
	v_pk_add_f32 v[74:75], v[78:79], v[74:75] neg_lo:[0,1] neg_hi:[0,1]
	v_pk_fma_f32 v[50:51], v[50:51], 0.5, v[54:55] op_sel_hi:[1,0,1] neg_lo:[1,0,0] neg_hi:[1,0,0]
	v_pk_add_f32 v[54:55], v[88:89], v[90:91] neg_lo:[0,1] neg_hi:[0,1]
	v_pk_mul_f32 v[64:65], v[64:65], s[16:17] op_sel_hi:[1,0]
	v_pk_add_f32 v[54:55], v[54:55], v[74:75]
	v_pk_mul_f32 v[74:75], v[76:77], s[14:15] op_sel_hi:[1,0]
	v_mov_b32_e32 v53, v69
	v_pk_add_f32 v[76:77], v[50:51], v[74:75] op_sel:[0,1] op_sel_hi:[1,0] neg_lo:[0,1] neg_hi:[0,1]
	v_pk_add_f32 v[50:51], v[50:51], v[74:75] op_sel:[0,1] op_sel_hi:[1,0]
	s_nop 0
	v_pk_add_f32 v[50:51], v[50:51], v[64:65] op_sel:[0,1] op_sel_hi:[1,0] neg_lo:[0,1] neg_hi:[0,1]
	v_pk_add_f32 v[64:65], v[76:77], v[64:65] op_sel:[0,1] op_sel_hi:[1,0]
	v_mov_b32_e32 v75, v51
	v_mov_b32_e32 v74, v64
	;; [unrolled: 1-line block ×3, first 2 shown]
	v_pk_fma_f32 v[74:75], v[54:55], s[0:1], v[74:75] op_sel_hi:[1,0,1]
	v_pk_fma_f32 v[50:51], v[54:55], s[0:1], v[50:51] op_sel_hi:[1,0,1]
	ds_write2_b64 v129, v[74:75], v[50:51] offset0:102 offset1:153
	v_pk_fma_f32 v[50:51], v[82:83], s[0:1], v[52:53] op_sel_hi:[1,0,1]
	ds_write_b64 v129, v[50:51] offset:1632
	v_pk_add_f32 v[50:51], v[58:59], v[66:67]
	v_pk_add_f32 v[52:53], v[70:71], v[84:85] neg_lo:[0,1] neg_hi:[0,1]
	v_pk_fma_f32 v[50:51], v[50:51], 0.5, v[62:63] op_sel_hi:[1,0,1] neg_lo:[1,0,0] neg_hi:[1,0,0]
	v_pk_mul_f32 v[54:55], v[52:53], s[14:15] op_sel_hi:[1,0]
	v_pk_add_f32 v[64:65], v[58:59], v[66:67] neg_lo:[0,1] neg_hi:[0,1]
	v_pk_add_f32 v[74:75], v[70:71], v[58:59] neg_lo:[0,1] neg_hi:[0,1]
	v_pk_add_f32 v[76:77], v[84:85], v[66:67] neg_lo:[0,1] neg_hi:[0,1]
	v_pk_mul_f32 v[68:69], v[64:65], s[16:17] op_sel_hi:[1,0]
	v_pk_add_f32 v[74:75], v[74:75], v[76:77]
	v_pk_add_f32 v[76:77], v[50:51], v[54:55] op_sel:[0,1] op_sel_hi:[1,0]
	v_pk_add_f32 v[50:51], v[50:51], v[54:55] op_sel:[0,1] op_sel_hi:[1,0] neg_lo:[0,1] neg_hi:[0,1]
	v_pk_add_f32 v[54:55], v[76:77], v[68:69] op_sel:[0,1] op_sel_hi:[1,0]
	v_pk_add_f32 v[50:51], v[50:51], v[68:69] op_sel:[0,1] op_sel_hi:[1,0] neg_lo:[0,1] neg_hi:[0,1]
	v_mov_b32_e32 v68, v54
	v_mov_b32_e32 v69, v51
	v_pk_fma_f32 v[68:69], v[74:75], s[0:1], v[68:69] op_sel_hi:[1,0,1]
	ds_write2_b64 v126, v[86:87], v[68:69] offset1:51
	v_pk_add_f32 v[68:69], v[70:71], v[84:85]
	v_pk_add_f32 v[58:59], v[58:59], v[70:71] neg_lo:[0,1] neg_hi:[0,1]
	v_pk_fma_f32 v[62:63], v[68:69], 0.5, v[62:63] op_sel_hi:[1,0,1] neg_lo:[1,0,0] neg_hi:[1,0,0]
	v_pk_add_f32 v[66:67], v[66:67], v[84:85] neg_lo:[0,1] neg_hi:[0,1]
	v_pk_mul_f32 v[64:65], v[64:65], s[14:15] op_sel_hi:[1,0]
	v_pk_add_f32 v[58:59], v[58:59], v[66:67]
	v_pk_mul_f32 v[52:53], v[52:53], s[16:17] op_sel_hi:[1,0]
	v_pk_add_f32 v[66:67], v[62:63], v[64:65] op_sel:[0,1] op_sel_hi:[1,0] neg_lo:[0,1] neg_hi:[0,1]
	v_pk_add_f32 v[62:63], v[62:63], v[64:65] op_sel:[0,1] op_sel_hi:[1,0]
	v_mov_b32_e32 v51, v55
	v_pk_add_f32 v[62:63], v[62:63], v[52:53] op_sel:[0,1] op_sel_hi:[1,0] neg_lo:[0,1] neg_hi:[0,1]
	v_pk_add_f32 v[52:53], v[66:67], v[52:53] op_sel:[0,1] op_sel_hi:[1,0]
	v_mov_b32_e32 v65, v63
	v_mov_b32_e32 v64, v52
	;; [unrolled: 1-line block ×3, first 2 shown]
	v_pk_fma_f32 v[64:65], v[58:59], s[0:1], v[64:65] op_sel_hi:[1,0,1]
	v_pk_fma_f32 v[52:53], v[58:59], s[0:1], v[62:63] op_sel_hi:[1,0,1]
	;; [unrolled: 1-line block ×3, first 2 shown]
	ds_write2_b64 v126, v[64:65], v[52:53] offset0:102 offset1:153
	ds_write_b64 v126, v[50:51] offset:1632
	s_waitcnt lgkmcnt(0)
	s_barrier
	global_load_dwordx4 v[52:55], v57, s[10:11] offset:1904
	global_load_dwordx4 v[48:51], v57, s[10:11] offset:1920
	v_lshlrev_b32_e32 v62, 5, v218
	global_load_dwordx4 v[56:59], v61, s[10:11] offset:1920
	global_load_dwordx4 v[68:71], v62, s[10:11] offset:1904
	global_load_dwordx4 v[64:67], v62, s[10:11] offset:1920
	ds_read2_b64 v[74:77], v60 offset0:124 offset1:209
	global_load_dwordx4 v[60:63], v61, s[10:11] offset:1904
	ds_read2_b64 v[80:83], v73 offset0:84 offset1:169
	ds_read2_b64 v[94:97], v197 offset0:170 offset1:255
	ds_read2_b64 v[84:87], v72 offset0:168 offset1:253
	ds_read2_b64 v[88:91], v101 offset0:82 offset1:167
	ds_read_b64 v[72:73], v197 offset:9520
	s_waitcnt vmcnt(5) lgkmcnt(4)
	v_pk_mul_f32 v[78:79], v[82:83], v[52:53] op_sel:[0,1]
	s_nop 0
	v_pk_fma_f32 v[104:105], v[82:83], v[52:53], v[78:79] op_sel:[0,0,1] op_sel_hi:[1,1,0] neg_lo:[0,0,1] neg_hi:[0,0,1]
	v_pk_fma_f32 v[78:79], v[82:83], v[52:53], v[78:79] op_sel:[0,0,1] op_sel_hi:[1,0,0]
	s_nop 0
	v_mov_b32_e32 v78, v55
	v_mov_b32_e32 v105, v79
	s_waitcnt lgkmcnt(2)
	v_pk_mul_f32 v[78:79], v[84:85], v[78:79] op_sel_hi:[1,0]
	s_nop 0
	v_pk_fma_f32 v[108:109], v[84:85], v[54:55], v[78:79] op_sel:[0,0,1] op_sel_hi:[1,1,0] neg_lo:[0,0,1] neg_hi:[0,0,1]
	v_pk_fma_f32 v[78:79], v[84:85], v[54:55], v[78:79] op_sel:[0,0,1] op_sel_hi:[1,0,0]
	s_nop 0
	v_mov_b32_e32 v109, v79
	s_waitcnt vmcnt(4) lgkmcnt(1)
	v_pk_mul_f32 v[78:79], v[90:91], v[48:49] op_sel:[0,1]
	s_nop 0
	v_pk_fma_f32 v[110:111], v[90:91], v[48:49], v[78:79] op_sel:[0,0,1] op_sel_hi:[1,1,0] neg_lo:[0,0,1] neg_hi:[0,0,1]
	v_pk_fma_f32 v[78:79], v[90:91], v[48:49], v[78:79] op_sel:[0,0,1] op_sel_hi:[1,0,0]
	ds_read2_b64 v[82:85], v197 offset1:85
	ds_read2_b64 v[90:93], v100 offset0:126 offset1:211
	v_mov_b32_e32 v78, v51
	v_mov_b32_e32 v111, v79
	s_waitcnt lgkmcnt(2)
	v_pk_mul_f32 v[78:79], v[72:73], v[78:79] op_sel_hi:[1,0]
	v_add_u32_e32 v100, 0x1400, v196
	v_pk_fma_f32 v[112:113], v[72:73], v[50:51], v[78:79] op_sel:[0,0,1] op_sel_hi:[1,1,0] neg_lo:[0,0,1] neg_hi:[0,0,1]
	v_pk_fma_f32 v[72:73], v[72:73], v[50:51], v[78:79] op_sel:[0,0,1] op_sel_hi:[1,0,0]
	s_waitcnt vmcnt(3)
	v_mov_b32_e32 v72, v59
	v_mov_b32_e32 v113, v73
	v_pk_mul_f32 v[72:73], v[76:77], v[72:73] op_sel_hi:[1,0]
	s_nop 0
	v_pk_fma_f32 v[98:99], v[76:77], v[58:59], v[72:73] op_sel:[0,0,1] op_sel_hi:[1,1,0] neg_lo:[0,0,1] neg_hi:[0,0,1]
	v_pk_fma_f32 v[72:73], v[76:77], v[58:59], v[72:73] op_sel:[0,0,1] op_sel_hi:[1,0,0]
	s_nop 0
	v_mov_b32_e32 v99, v73
	s_waitcnt vmcnt(2)
	v_pk_mul_f32 v[72:73], v[96:97], v[68:69] op_sel:[0,1]
	s_nop 0
	v_pk_fma_f32 v[76:77], v[96:97], v[68:69], v[72:73] op_sel:[0,0,1] op_sel_hi:[1,1,0] neg_lo:[0,0,1] neg_hi:[0,0,1]
	v_pk_fma_f32 v[72:73], v[96:97], v[68:69], v[72:73] op_sel:[0,0,1] op_sel_hi:[1,0,0]
	s_nop 0
	v_mov_b32_e32 v72, v71
	v_mov_b32_e32 v77, v73
	s_waitcnt lgkmcnt(0)
	v_pk_mul_f32 v[72:73], v[90:91], v[72:73] op_sel_hi:[1,0]
	s_nop 0
	v_pk_fma_f32 v[78:79], v[90:91], v[70:71], v[72:73] op_sel:[0,0,1] op_sel_hi:[1,1,0] neg_lo:[0,0,1] neg_hi:[0,0,1]
	v_pk_fma_f32 v[72:73], v[90:91], v[70:71], v[72:73] op_sel:[0,0,1] op_sel_hi:[1,0,0]
	s_nop 0
	v_mov_b32_e32 v79, v73
	s_waitcnt vmcnt(1)
	v_pk_mul_f32 v[72:73], v[86:87], v[64:65] op_sel:[0,1]
	v_pk_add_f32 v[106:107], v[78:79], v[76:77] neg_lo:[0,1] neg_hi:[0,1]
	v_pk_fma_f32 v[90:91], v[86:87], v[64:65], v[72:73] op_sel:[0,0,1] op_sel_hi:[1,1,0] neg_lo:[0,0,1] neg_hi:[0,0,1]
	v_pk_fma_f32 v[72:73], v[86:87], v[64:65], v[72:73] op_sel:[0,0,1] op_sel_hi:[1,0,0]
	s_nop 0
	v_mov_b32_e32 v72, v67
	v_mov_b32_e32 v91, v73
	v_pk_mul_f32 v[72:73], v[74:75], v[72:73] op_sel_hi:[1,0]
	v_pk_add_f32 v[118:119], v[78:79], v[90:91] neg_lo:[0,1] neg_hi:[0,1]
	v_pk_fma_f32 v[86:87], v[74:75], v[66:67], v[72:73] op_sel:[0,0,1] op_sel_hi:[1,1,0] neg_lo:[0,0,1] neg_hi:[0,0,1]
	v_pk_fma_f32 v[72:73], v[74:75], v[66:67], v[72:73] op_sel:[0,0,1] op_sel_hi:[1,0,0]
	v_pk_add_f32 v[74:75], v[76:77], v[78:79] neg_lo:[0,1] neg_hi:[0,1]
	v_mov_b32_e32 v87, v73
	v_pk_add_f32 v[96:97], v[86:87], v[90:91] neg_lo:[0,1] neg_hi:[0,1]
	v_pk_add_f32 v[114:115], v[90:91], v[86:87] neg_lo:[0,1] neg_hi:[0,1]
	v_pk_add_f32 v[96:97], v[74:75], v[96:97]
	v_pk_add_f32 v[74:75], v[76:77], v[86:87]
	;; [unrolled: 1-line block ×3, first 2 shown]
	v_pk_fma_f32 v[74:75], v[74:75], 0.5, v[82:83] op_sel_hi:[1,0,1] neg_lo:[1,0,0] neg_hi:[1,0,0]
	v_pk_add_f32 v[114:115], v[106:107], v[114:115]
	v_pk_add_f32 v[106:107], v[76:77], v[86:87] neg_lo:[0,1] neg_hi:[0,1]
	v_pk_fma_f32 v[120:121], v[118:119], s[14:15], v[74:75] op_sel:[1,0,0] op_sel_hi:[0,0,1]
	v_pk_add_f32 v[76:77], v[82:83], v[76:77]
	v_pk_fma_f32 v[74:75], v[118:119], s[14:15], v[74:75] op_sel:[1,0,0] op_sel_hi:[0,0,1] neg_lo:[1,0,0] neg_hi:[1,0,0]
	v_pk_fma_f32 v[72:73], v[72:73], 0.5, v[82:83] op_sel_hi:[1,0,1] neg_lo:[1,0,0] neg_hi:[1,0,0]
	v_pk_fma_f32 v[120:121], v[106:107], s[16:17], v[120:121] op_sel:[1,0,0] op_sel_hi:[0,0,1] neg_lo:[1,0,0] neg_hi:[1,0,0]
	v_pk_add_f32 v[76:77], v[76:77], v[78:79]
	v_pk_fma_f32 v[82:83], v[106:107], s[16:17], v[74:75] op_sel:[1,0,0] op_sel_hi:[0,0,1]
	v_mov_b32_e32 v74, v82
	v_mov_b32_e32 v75, v121
	v_pk_add_f32 v[76:77], v[76:77], v[90:91]
	v_mov_b32_e32 v121, v83
	s_waitcnt vmcnt(0)
	v_pk_mul_f32 v[82:83], v[80:81], v[60:61] op_sel:[0,1]
	v_pk_fma_f32 v[116:117], v[106:107], s[14:15], v[72:73] op_sel:[1,0,0] op_sel_hi:[0,0,1] neg_lo:[1,0,0] neg_hi:[1,0,0]
	v_pk_fma_f32 v[72:73], v[106:107], s[14:15], v[72:73] op_sel:[1,0,0] op_sel_hi:[0,0,1]
	v_pk_add_f32 v[106:107], v[76:77], v[86:87]
	v_pk_fma_f32 v[86:87], v[80:81], v[60:61], v[82:83] op_sel:[0,0,1] op_sel_hi:[1,1,0] neg_lo:[0,0,1] neg_hi:[0,0,1]
	v_pk_fma_f32 v[80:81], v[80:81], v[60:61], v[82:83] op_sel:[0,0,1] op_sel_hi:[1,0,0]
	v_pk_mul_f32 v[90:91], v[88:89], v[56:57] op_sel:[0,1]
	v_mov_b32_e32 v80, v63
	v_mov_b32_e32 v87, v81
	v_pk_mul_f32 v[80:81], v[92:93], v[80:81] op_sel_hi:[1,0]
	v_pk_fma_f32 v[116:117], v[118:119], s[16:17], v[116:117] op_sel:[1,0,0] op_sel_hi:[0,0,1] neg_lo:[1,0,0] neg_hi:[1,0,0]
	v_pk_fma_f32 v[78:79], v[118:119], s[16:17], v[72:73] op_sel:[1,0,0] op_sel_hi:[0,0,1]
	v_pk_fma_f32 v[82:83], v[92:93], v[62:63], v[80:81] op_sel:[0,0,1] op_sel_hi:[1,1,0] neg_lo:[0,0,1] neg_hi:[0,0,1]
	v_pk_fma_f32 v[80:81], v[92:93], v[62:63], v[80:81] op_sel:[0,0,1] op_sel_hi:[1,0,0]
	v_pk_fma_f32 v[92:93], v[88:89], v[56:57], v[90:91] op_sel:[0,0,1] op_sel_hi:[1,1,0] neg_lo:[0,0,1] neg_hi:[0,0,1]
	v_pk_fma_f32 v[88:89], v[88:89], v[56:57], v[90:91] op_sel:[0,0,1] op_sel_hi:[1,0,0]
	v_mov_b32_e32 v72, v78
	v_mov_b32_e32 v73, v117
	;; [unrolled: 1-line block ×9, first 2 shown]
	v_pk_fma_f32 v[72:73], v[96:97], s[0:1], v[72:73] op_sel_hi:[1,0,1]
	v_pk_fma_f32 v[78:79], v[96:97], s[0:1], v[116:117] op_sel_hi:[1,0,1]
	v_pk_add_f32 v[96:97], v[82:83], v[92:93]
	v_pk_add_f32 v[88:89], v[80:81], v[88:89] neg_lo:[0,1] neg_hi:[0,1]
	v_pk_add_f32 v[80:81], v[86:87], v[98:99]
	v_pk_add_f32 v[90:91], v[84:85], v[86:87]
	v_pk_fma_f32 v[96:97], v[96:97], 0.5, v[84:85] op_sel_hi:[1,0,1] neg_lo:[1,0,0] neg_hi:[1,0,0]
	v_pk_add_f32 v[116:117], v[86:87], v[98:99] neg_lo:[0,1] neg_hi:[0,1]
	v_pk_fma_f32 v[84:85], v[80:81], 0.5, v[84:85] op_sel_hi:[1,0,1] neg_lo:[1,0,0] neg_hi:[1,0,0]
	v_pk_mul_f32 v[118:119], v[116:117], s[14:15] op_sel_hi:[1,0]
	v_pk_fma_f32 v[80:81], v[88:89], s[14:15], v[84:85] op_sel_hi:[1,0,1]
	v_pk_mul_f32 v[116:117], v[116:117], s[16:17] op_sel_hi:[1,0]
	v_pk_fma_f32 v[74:75], v[114:115], s[0:1], v[74:75] op_sel_hi:[1,0,1]
	v_pk_fma_f32 v[76:77], v[114:115], s[0:1], v[120:121] op_sel_hi:[1,0,1]
	v_pk_add_f32 v[114:115], v[82:83], v[86:87] neg_lo:[0,1] neg_hi:[0,1]
	v_pk_add_f32 v[122:123], v[80:81], v[116:117] op_sel:[0,1] op_sel_hi:[1,0] neg_lo:[0,1] neg_hi:[0,1]
	v_pk_add_f32 v[80:81], v[90:91], v[82:83]
	v_pk_add_f32 v[82:83], v[86:87], v[82:83] neg_lo:[0,1] neg_hi:[0,1]
	v_pk_add_f32 v[86:87], v[98:99], v[92:93] neg_lo:[0,1] neg_hi:[0,1]
	v_pk_add_f32 v[120:121], v[96:97], v[118:119] op_sel:[0,1] op_sel_hi:[1,0] neg_lo:[0,1] neg_hi:[0,1]
	v_pk_add_f32 v[90:91], v[96:97], v[118:119] op_sel:[0,1] op_sel_hi:[1,0]
	v_pk_add_f32 v[86:87], v[82:83], v[86:87]
	v_pk_fma_f32 v[82:83], v[88:89], s[14:15], v[84:85] op_sel_hi:[1,0,1] neg_lo:[1,0,0] neg_hi:[1,0,0]
	v_pk_fma_f32 v[120:121], v[88:89], s[16:17], v[120:121] op_sel_hi:[1,0,1] neg_lo:[1,0,0] neg_hi:[1,0,0]
	v_pk_fma_f32 v[90:91], v[88:89], s[16:17], v[90:91] op_sel_hi:[1,0,1]
	v_pk_add_f32 v[116:117], v[116:117], v[82:83] op_sel:[1,0] op_sel_hi:[0,1]
	v_pk_add_f32 v[84:85], v[92:93], v[98:99] neg_lo:[0,1] neg_hi:[0,1]
	v_pk_add_f32 v[80:81], v[80:81], v[92:93]
	v_mov_b32_e32 v96, v90
	v_mov_b32_e32 v97, v121
	;; [unrolled: 1-line block ×4, first 2 shown]
	v_pk_add_f32 v[92:93], v[114:115], v[84:85]
	v_mov_b32_e32 v121, v91
	v_mov_b32_e32 v123, v117
	v_pk_fma_f32 v[84:85], v[92:93], s[0:1], v[82:83] op_sel_hi:[1,0,1]
	v_pk_fma_f32 v[82:83], v[86:87], s[0:1], v[96:97] op_sel_hi:[1,0,1]
	;; [unrolled: 1-line block ×4, first 2 shown]
	v_pk_add_f32 v[92:93], v[108:109], v[110:111]
	v_pk_add_f32 v[96:97], v[104:105], v[112:113] neg_lo:[0,1] neg_hi:[0,1]
	v_pk_fma_f32 v[92:93], v[92:93], 0.5, v[94:95] op_sel_hi:[1,0,1] neg_lo:[1,0,0] neg_hi:[1,0,0]
	v_pk_add_f32 v[80:81], v[80:81], v[98:99]
	v_pk_fma_f32 v[98:99], v[96:97], s[14:15], v[92:93] op_sel:[1,0,0] op_sel_hi:[0,0,1]
	v_pk_fma_f32 v[92:93], v[96:97], s[14:15], v[92:93] op_sel:[1,0,0] op_sel_hi:[0,0,1] neg_lo:[1,0,0] neg_hi:[1,0,0]
	v_pk_add_f32 v[114:115], v[108:109], v[110:111] neg_lo:[0,1] neg_hi:[0,1]
	v_pk_add_f32 v[118:119], v[104:105], v[108:109] neg_lo:[0,1] neg_hi:[0,1]
	v_pk_fma_f32 v[116:117], v[114:115], s[16:17], v[92:93] op_sel:[1,0,0] op_sel_hi:[0,0,1] neg_lo:[1,0,0] neg_hi:[1,0,0]
	v_pk_fma_f32 v[98:99], v[114:115], s[16:17], v[98:99] op_sel:[1,0,0] op_sel_hi:[0,0,1]
	v_pk_add_f32 v[120:121], v[112:113], v[110:111] neg_lo:[0,1] neg_hi:[0,1]
	v_mov_b32_e32 v93, v117
	v_pk_add_f32 v[118:119], v[118:119], v[120:121]
	v_mov_b32_e32 v117, v99
	v_mov_b32_e32 v92, v98
	v_pk_fma_f32 v[98:99], v[118:119], s[0:1], v[116:117] op_sel_hi:[1,0,1]
	v_pk_add_f32 v[116:117], v[104:105], v[112:113]
	v_pk_add_f32 v[90:91], v[94:95], v[104:105]
	v_pk_fma_f32 v[94:95], v[116:117], 0.5, v[94:95] op_sel_hi:[1,0,1] neg_lo:[1,0,0] neg_hi:[1,0,0]
	v_pk_add_f32 v[90:91], v[90:91], v[108:109]
	v_pk_fma_f32 v[116:117], v[114:115], s[14:15], v[94:95] op_sel:[1,0,0] op_sel_hi:[0,0,1] neg_lo:[1,0,0] neg_hi:[1,0,0]
	v_pk_fma_f32 v[94:95], v[114:115], s[14:15], v[94:95] op_sel:[1,0,0] op_sel_hi:[0,0,1]
	v_pk_fma_f32 v[114:115], v[96:97], s[16:17], v[94:95] op_sel:[1,0,0] op_sel_hi:[0,0,1] neg_lo:[1,0,0] neg_hi:[1,0,0]
	v_pk_fma_f32 v[96:97], v[96:97], s[16:17], v[116:117] op_sel:[1,0,0] op_sel_hi:[0,0,1]
	v_pk_add_f32 v[104:105], v[108:109], v[104:105] neg_lo:[0,1] neg_hi:[0,1]
	v_pk_add_f32 v[108:109], v[110:111], v[112:113] neg_lo:[0,1] neg_hi:[0,1]
	v_pk_add_f32 v[90:91], v[90:91], v[110:111]
	v_mov_b32_e32 v94, v96
	v_mov_b32_e32 v95, v115
	v_pk_add_f32 v[104:105], v[104:105], v[108:109]
	v_mov_b32_e32 v115, v97
	v_pk_add_f32 v[90:91], v[90:91], v[112:113]
	v_pk_fma_f32 v[92:93], v[118:119], s[0:1], v[92:93] op_sel_hi:[1,0,1]
	v_pk_fma_f32 v[94:95], v[104:105], s[0:1], v[94:95] op_sel_hi:[1,0,1]
	;; [unrolled: 1-line block ×3, first 2 shown]
	v_add_u32_e32 v110, 0x400, v196
	v_add_u32_e32 v109, 0x800, v196
	;; [unrolled: 1-line block ×5, first 2 shown]
	ds_write_b64 v131, v[106:107]
	ds_write2_b64 v110, v[72:73], v[82:83] offset0:127 offset1:212
	ds_write2_b64 v100, v[76:77], v[86:87] offset0:125 offset1:210
	ds_write2_b64 v196, v[80:81], v[90:91] offset0:85 offset1:170
	ds_write2_b64 v109, v[92:93], v[74:75] offset0:169 offset1:254
	ds_write2_b64 v108, v[84:85], v[94:95] offset0:83 offset1:168
	ds_write2_b64 v105, v[96:97], v[78:79] offset0:167 offset1:252
	ds_write2_b64 v104, v[88:89], v[98:99] offset0:81 offset1:166
	s_waitcnt lgkmcnt(0)
	s_barrier
	s_and_saveexec_b64 s[0:1], s[2:3]
	s_cbranch_execz .LBB0_9
; %bb.8:
	v_mov_b32_e32 v217, 0
	v_lshl_add_u64 v[116:117], s[8:9], 0, v[216:217]
	v_add_co_u32_e32 v114, vcc, 0x2000, v116
	ds_read_b64 v[112:113], v131
	s_nop 0
	v_addc_co_u32_e32 v115, vcc, 0, v117, vcc
	global_load_dwordx2 v[114:115], v[114:115], off offset:2008
	s_mov_b64 s[10:11], 0x27d8
	v_lshl_add_u64 v[118:119], v[116:117], 0, s[10:11]
	s_movk_i32 s10, 0x3000
	s_waitcnt vmcnt(0) lgkmcnt(0)
	v_mul_f32_e32 v100, v113, v115
	v_mul_f32_e32 v121, v112, v115
	v_fma_f32 v120, v112, v114, -v100
	v_fmac_f32_e32 v121, v113, v114
	ds_write_b64 v131, v[120:121]
	global_load_dwordx2 v[120:121], v[118:119], off offset:600
	ds_read2_b64 v[112:115], v196 offset0:75 offset1:150
	s_waitcnt vmcnt(0) lgkmcnt(0)
	v_mul_f32_e32 v100, v113, v121
	v_mul_f32_e32 v123, v112, v121
	v_fma_f32 v122, v112, v120, -v100
	v_fmac_f32_e32 v123, v113, v120
	global_load_dwordx2 v[112:113], v[118:119], off offset:1200
	s_waitcnt vmcnt(0)
	v_mul_f32_e32 v100, v115, v113
	v_mul_f32_e32 v121, v114, v113
	v_fma_f32 v120, v114, v112, -v100
	v_fmac_f32_e32 v121, v115, v112
	ds_write2_b64 v196, v[122:123], v[120:121] offset0:75 offset1:150
	global_load_dwordx2 v[120:121], v[118:119], off offset:1800
	ds_read2_b64 v[112:115], v110 offset0:97 offset1:172
	s_waitcnt vmcnt(0) lgkmcnt(0)
	v_mul_f32_e32 v100, v113, v121
	v_mul_f32_e32 v123, v112, v121
	v_fma_f32 v122, v112, v120, -v100
	v_fmac_f32_e32 v123, v113, v120
	global_load_dwordx2 v[112:113], v[118:119], off offset:2400
	s_waitcnt vmcnt(0)
	v_mul_f32_e32 v100, v115, v113
	v_mul_f32_e32 v121, v114, v113
	v_fma_f32 v120, v114, v112, -v100
	v_fmac_f32_e32 v121, v115, v112
	global_load_dwordx2 v[114:115], v[118:119], off offset:3000
	ds_write2_b64 v110, v[122:123], v[120:121] offset0:97 offset1:172
	ds_read2_b64 v[110:113], v109 offset0:119 offset1:194
	s_waitcnt vmcnt(0) lgkmcnt(0)
	v_mul_f32_e32 v100, v111, v115
	v_mul_f32_e32 v121, v110, v115
	v_fma_f32 v120, v110, v114, -v100
	v_fmac_f32_e32 v121, v111, v114
	global_load_dwordx2 v[110:111], v[118:119], off offset:3600
	s_waitcnt vmcnt(0)
	v_mul_f32_e32 v100, v113, v111
	v_mul_f32_e32 v115, v112, v111
	v_fma_f32 v114, v112, v110, -v100
	v_fmac_f32_e32 v115, v113, v110
	ds_write2_b64 v109, v[120:121], v[114:115] offset0:119 offset1:194
	v_add_co_u32_e32 v114, vcc, s10, v116
	ds_read2_b64 v[110:113], v108 offset0:13 offset1:88
	s_nop 0
	v_addc_co_u32_e32 v115, vcc, 0, v117, vcc
	global_load_dwordx2 v[118:119], v[114:115], off offset:2112
	s_movk_i32 s10, 0x4000
	s_waitcnt vmcnt(0) lgkmcnt(0)
	v_mul_f32_e32 v100, v111, v119
	v_mul_f32_e32 v121, v110, v119
	v_fma_f32 v120, v110, v118, -v100
	v_fmac_f32_e32 v121, v111, v118
	global_load_dwordx2 v[110:111], v[114:115], off offset:2712
	s_waitcnt vmcnt(0)
	v_mul_f32_e32 v100, v113, v111
	v_mul_f32_e32 v119, v112, v111
	v_fma_f32 v118, v112, v110, -v100
	v_fmac_f32_e32 v119, v113, v110
	ds_write2_b64 v108, v[120:121], v[118:119] offset0:13 offset1:88
	global_load_dwordx2 v[118:119], v[114:115], off offset:3312
	ds_read2_b64 v[110:113], v108 offset0:163 offset1:238
	s_waitcnt vmcnt(0) lgkmcnt(0)
	v_mul_f32_e32 v100, v111, v119
	v_mul_f32_e32 v121, v110, v119
	v_fma_f32 v120, v110, v118, -v100
	v_fmac_f32_e32 v121, v111, v118
	global_load_dwordx2 v[110:111], v[114:115], off offset:3912
	s_waitcnt vmcnt(0)
	v_mul_f32_e32 v100, v113, v111
	v_fma_f32 v114, v112, v110, -v100
	v_mul_f32_e32 v115, v112, v111
	v_add_co_u32_e32 v112, vcc, s10, v116
	v_fmac_f32_e32 v115, v113, v110
	s_nop 0
	v_addc_co_u32_e32 v113, vcc, 0, v117, vcc
	ds_write2_b64 v108, v[120:121], v[114:115] offset0:163 offset1:238
	global_load_dwordx2 v[114:115], v[112:113], off offset:416
	ds_read2_b64 v[108:111], v105 offset0:57 offset1:132
	s_waitcnt vmcnt(0) lgkmcnt(0)
	v_mul_f32_e32 v100, v109, v115
	v_mul_f32_e32 v117, v108, v115
	v_fma_f32 v116, v108, v114, -v100
	v_fmac_f32_e32 v117, v109, v114
	global_load_dwordx2 v[108:109], v[112:113], off offset:1016
	s_waitcnt vmcnt(0)
	v_mul_f32_e32 v100, v111, v109
	v_mul_f32_e32 v115, v110, v109
	v_fma_f32 v114, v110, v108, -v100
	v_fmac_f32_e32 v115, v111, v108
	ds_write2_b64 v105, v[116:117], v[114:115] offset0:57 offset1:132
	global_load_dwordx2 v[114:115], v[112:113], off offset:1616
	v_add_u32_e32 v100, 0x1c00, v196
	ds_read2_b64 v[108:111], v100 offset0:79 offset1:154
	s_waitcnt vmcnt(0) lgkmcnt(0)
	v_mul_f32_e32 v101, v109, v115
	v_mul_f32_e32 v117, v108, v115
	v_fma_f32 v116, v108, v114, -v101
	v_fmac_f32_e32 v117, v109, v114
	global_load_dwordx2 v[108:109], v[112:113], off offset:2216
	s_waitcnt vmcnt(0)
	v_mul_f32_e32 v101, v111, v109
	v_mul_f32_e32 v115, v110, v109
	v_fma_f32 v114, v110, v108, -v101
	v_fmac_f32_e32 v115, v111, v108
	ds_write2_b64 v100, v[116:117], v[114:115] offset0:79 offset1:154
	global_load_dwordx2 v[114:115], v[112:113], off offset:2816
	ds_read2_b64 v[108:111], v104 offset0:101 offset1:176
	s_waitcnt vmcnt(0) lgkmcnt(0)
	v_mul_f32_e32 v100, v109, v115
	v_mul_f32_e32 v117, v108, v115
	v_fma_f32 v116, v108, v114, -v100
	v_fmac_f32_e32 v117, v109, v114
	global_load_dwordx2 v[108:109], v[112:113], off offset:3416
	s_waitcnt vmcnt(0)
	v_mul_f32_e32 v100, v111, v109
	v_mul_f32_e32 v113, v110, v109
	v_fma_f32 v112, v110, v108, -v100
	v_fmac_f32_e32 v113, v111, v108
	ds_write2_b64 v104, v[116:117], v[112:113] offset0:101 offset1:176
.LBB0_9:
	s_or_b64 exec, exec, s[0:1]
	s_waitcnt lgkmcnt(0)
	s_barrier
	s_and_saveexec_b64 s[0:1], s[2:3]
	s_cbranch_execz .LBB0_11
; %bb.10:
	v_add_u32_e32 v12, 0x400, v131
	ds_read2_b64 v[72:75], v131 offset0:75 offset1:150
	ds_read_b64 v[106:107], v131
	ds_read2_b64 v[76:79], v12 offset0:97 offset1:172
	v_add_u32_e32 v12, 0x800, v131
	ds_read2_b64 v[80:83], v12 offset0:119 offset1:194
	v_add_u32_e32 v12, 0x1000, v131
	ds_read2_b64 v[84:87], v12 offset0:13 offset1:88
	ds_read2_b64 v[88:91], v12 offset0:163 offset1:238
	v_add_u32_e32 v12, 0x1800, v131
	ds_read2_b64 v[92:95], v12 offset0:57 offset1:132
	v_add_u32_e32 v96, 0x1c00, v131
	v_add_u32_e32 v12, 0x2000, v131
	ds_read2_b64 v[12:15], v12 offset0:101 offset1:176
	ds_read2_b64 v[96:99], v96 offset0:79 offset1:154
.LBB0_11:
	s_or_b64 exec, exec, s[0:1]
	v_mov_b32_e32 v174, v20
	v_mov_b32_e32 v175, v20
	;; [unrolled: 1-line block ×102, first 2 shown]
	v_add_u32_e32 v105, 0x2a8, v196
	v_add_u32_e32 v104, 0x550, v196
	s_waitcnt lgkmcnt(0)
	s_barrier
	s_and_saveexec_b64 s[0:1], s[2:3]
	s_cbranch_execz .LBB0_13
; %bb.12:
	v_accvgpr_write_b32 a1, v104
	v_accvgpr_write_b32 a3, v105
	v_pk_add_f32 v[104:105], v[72:73], v[106:107]
	v_pk_add_f32 v[192:193], v[72:73], v[14:15] neg_lo:[0,1] neg_hi:[0,1]
	v_pk_add_f32 v[104:105], v[74:75], v[104:105]
	v_accvgpr_write_b32 a24, v180
	v_pk_add_f32 v[104:105], v[76:77], v[104:105]
	s_mov_b32 s28, 0xbeb8f4ab
	v_pk_add_f32 v[104:105], v[78:79], v[104:105]
	v_pk_add_f32 v[188:189], v[14:15], v[72:73]
	;; [unrolled: 1-line block ×3, first 2 shown]
	v_accvgpr_write_b32 a25, v181
	v_pk_add_f32 v[104:105], v[82:83], v[104:105]
	v_pk_add_f32 v[180:181], v[12:13], v[74:75]
	;; [unrolled: 1-line block ×3, first 2 shown]
	v_pk_add_f32 v[184:185], v[74:75], v[12:13] neg_lo:[0,1] neg_hi:[0,1]
	v_pk_add_f32 v[104:105], v[86:87], v[104:105]
	s_mov_b32 s18, 0x3f6eb680
	v_pk_add_f32 v[104:105], v[88:89], v[104:105]
	s_mov_b32 s42, 0xbf2c7751
	;; [unrolled: 2-line block ×3, first 2 shown]
	v_pk_add_f32 v[104:105], v[92:93], v[104:105]
	v_lshl_add_u32 v186, v177, 3, v176
	v_pk_add_f32 v[104:105], v[94:95], v[104:105]
	v_pk_add_f32 v[176:177], v[76:77], v[98:99] neg_lo:[0,1] neg_hi:[0,1]
	v_pk_add_f32 v[104:105], v[96:97], v[104:105]
	s_mov_b32 s50, 0xbf65296c
	v_pk_add_f32 v[104:105], v[98:99], v[104:105]
	s_mov_b32 s14, 0x3ee437d1
	v_pk_add_f32 v[104:105], v[12:13], v[104:105]
	v_pk_mul_f32 v[12:13], v[192:193], s[28:29] op_sel_hi:[1,0]
	v_pk_add_f32 v[100:101], v[14:15], v[104:105]
	v_pk_fma_f32 v[72:73], v[188:189], s[18:19], v[12:13] op_sel:[0,0,1] op_sel_hi:[1,0,0] neg_lo:[0,0,1] neg_hi:[0,0,1]
	v_pk_fma_f32 v[14:15], v[188:189], s[18:19], v[12:13] op_sel:[0,0,1] op_sel_hi:[1,0,0]
	v_mov_b32_e32 v13, v73
	v_accvgpr_write_b32 a28, v72
	v_pk_mul_f32 v[72:73], v[184:185], s[42:43] op_sel_hi:[1,0]
	v_mov_b32_e32 v12, v14
	v_accvgpr_write_b32 a29, v15
	v_pk_fma_f32 v[14:15], v[180:181], s[16:17], v[72:73] op_sel:[0,0,1] op_sel_hi:[1,0,0]
	v_pk_fma_f32 v[74:75], v[180:181], s[16:17], v[72:73] op_sel:[0,0,1] op_sel_hi:[1,0,0] neg_lo:[0,0,1] neg_hi:[0,0,1]
	v_pk_add_f32 v[12:13], v[106:107], v[12:13]
	v_mov_b32_e32 v72, v14
	v_mov_b32_e32 v73, v75
	v_pk_add_f32 v[104:105], v[98:99], v[76:77]
	v_pk_add_f32 v[12:13], v[72:73], v[12:13]
	v_pk_mul_f32 v[72:73], v[176:177], s[50:51] op_sel_hi:[1,0]
	v_accvgpr_write_b32 a31, v15
	v_accvgpr_write_b32 a30, v74
	v_pk_fma_f32 v[14:15], v[104:105], s[14:15], v[72:73] op_sel:[0,0,1] op_sel_hi:[1,0,0]
	v_pk_fma_f32 v[74:75], v[104:105], s[14:15], v[72:73] op_sel:[0,0,1] op_sel_hi:[1,0,0] neg_lo:[0,0,1] neg_hi:[0,0,1]
	v_pk_add_f32 v[254:255], v[78:79], v[96:97] neg_lo:[0,1] neg_hi:[0,1]
	v_mov_b32_e32 v72, v14
	v_mov_b32_e32 v73, v75
	s_mov_b32 s40, 0xbf7ee86f
	v_pk_add_f32 v[248:249], v[96:97], v[78:79]
	v_pk_add_f32 v[12:13], v[72:73], v[12:13]
	s_mov_b32 s10, 0x3dbcf732
	v_pk_mul_f32 v[72:73], v[254:255], s[40:41] op_sel_hi:[1,0]
	v_accvgpr_write_b32 a33, v15
	v_accvgpr_write_b32 a32, v74
	v_pk_fma_f32 v[14:15], v[248:249], s[10:11], v[72:73] op_sel:[0,0,1] op_sel_hi:[1,0,0]
	v_pk_fma_f32 v[74:75], v[248:249], s[10:11], v[72:73] op_sel:[0,0,1] op_sel_hi:[1,0,0] neg_lo:[0,0,1] neg_hi:[0,0,1]
	v_pk_add_f32 v[246:247], v[80:81], v[94:95] neg_lo:[0,1] neg_hi:[0,1]
	v_mov_b32_e32 v72, v14
	v_mov_b32_e32 v73, v75
	s_mov_b32 s22, 0xbf763a35
	v_pk_add_f32 v[240:241], v[94:95], v[80:81]
	v_pk_add_f32 v[12:13], v[72:73], v[12:13]
	s_mov_b32 s20, 0xbe8c1d8e
	;; [unrolled: 12-line block ×3, first 2 shown]
	v_pk_mul_f32 v[72:73], v[234:235], s[26:27] op_sel_hi:[1,0]
	v_accvgpr_write_b32 a37, v15
	v_accvgpr_write_b32 a36, v74
	v_pk_fma_f32 v[14:15], v[232:233], s[24:25], v[72:73] op_sel:[0,0,1] op_sel_hi:[1,0,0]
	v_pk_fma_f32 v[74:75], v[232:233], s[24:25], v[72:73] op_sel:[0,0,1] op_sel_hi:[1,0,0] neg_lo:[0,0,1] neg_hi:[0,0,1]
	v_pk_add_f32 v[78:79], v[84:85], v[90:91] neg_lo:[0,1] neg_hi:[0,1]
	v_mov_b32_e32 v72, v14
	v_mov_b32_e32 v73, v75
	v_pk_add_f32 v[224:225], v[90:91], v[84:85]
	v_pk_add_f32 v[12:13], v[72:73], v[12:13]
	s_mov_b32 s30, 0xbf59a7d5
	v_pk_mul_f32 v[72:73], v[78:79], s[34:35] op_sel_hi:[1,0]
	v_accvgpr_write_b32 a39, v15
	v_accvgpr_write_b32 a38, v74
	v_pk_fma_f32 v[14:15], v[224:225], s[30:31], v[72:73] op_sel:[0,0,1] op_sel_hi:[1,0,0]
	v_pk_fma_f32 v[74:75], v[224:225], s[30:31], v[72:73] op_sel:[0,0,1] op_sel_hi:[1,0,0] neg_lo:[0,0,1] neg_hi:[0,0,1]
	v_pk_add_f32 v[82:83], v[86:87], v[88:89] neg_lo:[0,1] neg_hi:[0,1]
	v_mov_b32_e32 v72, v14
	v_mov_b32_e32 v73, v75
	s_mov_b32 s38, 0xbe3c28d5
	v_accvgpr_write_b32 a0, v216
	v_pk_add_f32 v[216:217], v[88:89], v[86:87]
	v_pk_add_f32 v[12:13], v[72:73], v[12:13]
	s_mov_b32 s36, 0xbf7ba420
	v_pk_mul_f32 v[72:73], v[82:83], s[38:39] op_sel_hi:[1,0]
	v_accvgpr_write_b32 a41, v15
	v_accvgpr_write_b32 a40, v74
	v_pk_fma_f32 v[14:15], v[216:217], s[36:37], v[72:73] op_sel:[0,0,1] op_sel_hi:[1,0,0]
	v_pk_fma_f32 v[74:75], v[216:217], s[36:37], v[72:73] op_sel:[0,0,1] op_sel_hi:[1,0,0] neg_lo:[0,0,1] neg_hi:[0,0,1]
	v_mov_b32_e32 v72, v14
	v_mov_b32_e32 v73, v75
	v_pk_add_f32 v[12:13], v[72:73], v[12:13]
	ds_write2_b64 v186, v[100:101], v[12:13] offset1:1
	v_pk_mul_f32 v[12:13], v[192:193], s[42:43] op_sel_hi:[1,0]
	v_accvgpr_write_b32 a43, v15
	v_pk_fma_f32 v[72:73], v[188:189], s[16:17], v[12:13] op_sel:[0,0,1] op_sel_hi:[1,0,0] neg_lo:[0,0,1] neg_hi:[0,0,1]
	v_pk_fma_f32 v[14:15], v[188:189], s[16:17], v[12:13] op_sel:[0,0,1] op_sel_hi:[1,0,0]
	v_mov_b32_e32 v13, v73
	v_accvgpr_write_b32 a44, v72
	v_pk_mul_f32 v[72:73], v[184:185], s[40:41] op_sel_hi:[1,0]
	v_accvgpr_write_b32 a42, v74
	v_mov_b32_e32 v12, v14
	v_accvgpr_write_b32 a45, v15
	v_pk_fma_f32 v[14:15], v[180:181], s[10:11], v[72:73] op_sel:[0,0,1] op_sel_hi:[1,0,0]
	v_pk_fma_f32 v[74:75], v[180:181], s[10:11], v[72:73] op_sel:[0,0,1] op_sel_hi:[1,0,0] neg_lo:[0,0,1] neg_hi:[0,0,1]
	v_pk_add_f32 v[12:13], v[106:107], v[12:13]
	v_mov_b32_e32 v72, v14
	v_mov_b32_e32 v73, v75
	v_pk_add_f32 v[12:13], v[72:73], v[12:13]
	v_pk_mul_f32 v[72:73], v[176:177], s[26:27] op_sel_hi:[1,0]
	v_accvgpr_write_b32 a47, v15
	v_accvgpr_write_b32 a46, v74
	v_pk_fma_f32 v[14:15], v[104:105], s[24:25], v[72:73] op_sel:[0,0,1] op_sel_hi:[1,0,0]
	v_pk_fma_f32 v[74:75], v[104:105], s[24:25], v[72:73] op_sel:[0,0,1] op_sel_hi:[1,0,0] neg_lo:[0,0,1] neg_hi:[0,0,1]
	v_mov_b32_e32 v72, v14
	v_mov_b32_e32 v73, v75
	v_pk_add_f32 v[12:13], v[72:73], v[12:13]
	v_pk_mul_f32 v[72:73], v[254:255], s[38:39] op_sel_hi:[1,0]
	v_accvgpr_write_b32 a49, v15
	v_accvgpr_write_b32 a48, v74
	v_pk_fma_f32 v[14:15], v[248:249], s[36:37], v[72:73] op_sel:[0,0,1] op_sel_hi:[1,0,0]
	v_pk_fma_f32 v[74:75], v[248:249], s[36:37], v[72:73] op_sel:[0,0,1] op_sel_hi:[1,0,0] neg_lo:[0,0,1] neg_hi:[0,0,1]
	v_mov_b32_e32 v72, v14
	v_mov_b32_e32 v73, v75
	s_mov_b32 s54, 0x3f06c442
	v_pk_add_f32 v[12:13], v[72:73], v[12:13]
	v_pk_mul_f32 v[72:73], v[246:247], s[54:55] op_sel_hi:[1,0]
	v_accvgpr_write_b32 a51, v15
	v_accvgpr_write_b32 a50, v74
	v_pk_fma_f32 v[14:15], v[240:241], s[30:31], v[72:73] op_sel:[0,0,1] op_sel_hi:[1,0,0]
	v_pk_fma_f32 v[74:75], v[240:241], s[30:31], v[72:73] op_sel:[0,0,1] op_sel_hi:[1,0,0] neg_lo:[0,0,1] neg_hi:[0,0,1]
	v_mov_b32_e32 v72, v14
	v_mov_b32_e32 v73, v75
	s_mov_b32 s52, 0x3f763a35
	v_pk_add_f32 v[12:13], v[72:73], v[12:13]
	v_pk_mul_f32 v[72:73], v[234:235], s[52:53] op_sel_hi:[1,0]
	v_accvgpr_write_b32 a53, v15
	v_pk_fma_f32 v[14:15], v[232:233], s[20:21], v[72:73] op_sel:[0,0,1] op_sel_hi:[1,0,0]
	v_pk_fma_f32 v[98:99], v[232:233], s[20:21], v[72:73] op_sel:[0,0,1] op_sel_hi:[1,0,0] neg_lo:[0,0,1] neg_hi:[0,0,1]
	v_mov_b32_e32 v72, v14
	v_mov_b32_e32 v73, v99
	s_mov_b32 s44, 0x3f65296c
	v_pk_add_f32 v[12:13], v[72:73], v[12:13]
	v_pk_mul_f32 v[72:73], v[78:79], s[44:45] op_sel_hi:[1,0]
	v_accvgpr_write_b32 a55, v15
	v_pk_fma_f32 v[14:15], v[224:225], s[14:15], v[72:73] op_sel:[0,0,1] op_sel_hi:[1,0,0]
	v_pk_fma_f32 v[94:95], v[224:225], s[14:15], v[72:73] op_sel:[0,0,1] op_sel_hi:[1,0,0] neg_lo:[0,0,1] neg_hi:[0,0,1]
	v_mov_b32_e32 v72, v14
	v_mov_b32_e32 v73, v95
	v_pk_add_f32 v[12:13], v[72:73], v[12:13]
	v_pk_mul_f32 v[72:73], v[82:83], s[46:47] op_sel_hi:[1,0]
	v_accvgpr_write_b32 a57, v15
	v_pk_fma_f32 v[14:15], v[216:217], s[18:19], v[72:73] op_sel:[0,0,1] op_sel_hi:[1,0,0]
	v_pk_fma_f32 v[90:91], v[216:217], s[18:19], v[72:73] op_sel:[0,0,1] op_sel_hi:[1,0,0] neg_lo:[0,0,1] neg_hi:[0,0,1]
	v_mov_b32_e32 v72, v14
	v_mov_b32_e32 v73, v91
	v_pk_add_f32 v[72:73], v[72:73], v[12:13]
	v_pk_mul_f32 v[12:13], v[192:193], s[50:51] op_sel_hi:[1,0]
	v_accvgpr_write_b32 a59, v15
	v_pk_fma_f32 v[14:15], v[188:189], s[14:15], v[12:13] op_sel:[0,0,1] op_sel_hi:[1,0,0]
	v_pk_fma_f32 v[210:211], v[188:189], s[14:15], v[12:13] op_sel:[0,0,1] op_sel_hi:[1,0,0] neg_lo:[0,0,1] neg_hi:[0,0,1]
	v_pk_mul_f32 v[76:77], v[184:185], s[26:27] op_sel_hi:[1,0]
	v_mov_b32_e32 v12, v14
	v_mov_b32_e32 v95, v15
	;; [unrolled: 1-line block ×3, first 2 shown]
	v_pk_fma_f32 v[14:15], v[180:181], s[24:25], v[76:77] op_sel:[0,0,1] op_sel_hi:[1,0,0]
	v_pk_fma_f32 v[214:215], v[180:181], s[24:25], v[76:77] op_sel:[0,0,1] op_sel_hi:[1,0,0] neg_lo:[0,0,1] neg_hi:[0,0,1]
	v_pk_add_f32 v[12:13], v[106:107], v[12:13]
	v_mov_b32_e32 v76, v14
	v_mov_b32_e32 v77, v215
	s_mov_b32 s48, 0x3e3c28d5
	v_pk_add_f32 v[12:13], v[76:77], v[12:13]
	v_pk_mul_f32 v[76:77], v[176:177], s[48:49] op_sel_hi:[1,0]
	v_mov_b32_e32 v99, v15
	v_pk_fma_f32 v[14:15], v[104:105], s[36:37], v[76:77] op_sel:[0,0,1] op_sel_hi:[1,0,0]
	v_pk_fma_f32 v[222:223], v[104:105], s[36:37], v[76:77] op_sel:[0,0,1] op_sel_hi:[1,0,0] neg_lo:[0,0,1] neg_hi:[0,0,1]
	v_mov_b32_e32 v76, v14
	v_mov_b32_e32 v77, v223
	v_pk_add_f32 v[12:13], v[76:77], v[12:13]
	v_pk_mul_f32 v[76:77], v[254:255], s[52:53] op_sel_hi:[1,0]
	v_accvgpr_write_b32 a61, v15
	v_pk_fma_f32 v[14:15], v[248:249], s[20:21], v[76:77] op_sel:[0,0,1] op_sel_hi:[1,0,0]
	v_pk_fma_f32 v[228:229], v[248:249], s[20:21], v[76:77] op_sel:[0,0,1] op_sel_hi:[1,0,0] neg_lo:[0,0,1] neg_hi:[0,0,1]
	v_mov_b32_e32 v76, v14
	v_mov_b32_e32 v77, v229
	s_mov_b32 s48, 0x3f2c7751
	v_pk_add_f32 v[12:13], v[76:77], v[12:13]
	v_pk_mul_f32 v[76:77], v[246:247], s[48:49] op_sel_hi:[1,0]
	v_accvgpr_write_b32 a63, v15
	v_pk_fma_f32 v[14:15], v[240:241], s[16:17], v[76:77] op_sel:[0,0,1] op_sel_hi:[1,0,0]
	v_pk_fma_f32 v[238:239], v[240:241], s[16:17], v[76:77] op_sel:[0,0,1] op_sel_hi:[1,0,0] neg_lo:[0,0,1] neg_hi:[0,0,1]
	v_mov_b32_e32 v76, v14
	v_mov_b32_e32 v77, v239
	v_pk_add_f32 v[12:13], v[76:77], v[12:13]
	v_pk_mul_f32 v[76:77], v[234:235], s[28:29] op_sel_hi:[1,0]
	v_accvgpr_write_b32 a65, v15
	v_pk_fma_f32 v[14:15], v[232:233], s[18:19], v[76:77] op_sel:[0,0,1] op_sel_hi:[1,0,0]
	v_pk_fma_f32 v[244:245], v[232:233], s[18:19], v[76:77] op_sel:[0,0,1] op_sel_hi:[1,0,0] neg_lo:[0,0,1] neg_hi:[0,0,1]
	v_mov_b32_e32 v76, v14
	v_mov_b32_e32 v77, v245
	;; [unrolled: 7-line block ×3, first 2 shown]
	v_pk_add_f32 v[76:77], v[76:77], v[12:13]
	v_pk_mul_f32 v[12:13], v[82:83], s[34:35] op_sel_hi:[1,0]
	s_mov_b32 s56, 0x3f4c4adb
	v_pk_fma_f32 v[80:81], v[216:217], s[30:31], v[12:13] op_sel:[0,0,1] op_sel_hi:[1,0,0]
	v_pk_fma_f32 v[12:13], v[216:217], s[30:31], v[12:13] op_sel:[0,0,1] op_sel_hi:[1,0,0] neg_lo:[0,0,1] neg_hi:[0,0,1]
	v_accvgpr_write_b32 a71, v81
	v_mov_b32_e32 v81, v13
	v_pk_add_f32 v[76:77], v[80:81], v[76:77]
	ds_write2_b64 v186, v[72:73], v[76:77] offset0:2 offset1:3
	v_pk_mul_f32 v[72:73], v[192:193], s[40:41] op_sel_hi:[1,0]
	v_mov_b32_e32 v13, v103
	v_pk_fma_f32 v[76:77], v[188:189], s[10:11], v[72:73] op_sel:[0,0,1] op_sel_hi:[1,0,0]
	v_pk_fma_f32 v[72:73], v[188:189], s[10:11], v[72:73] op_sel:[0,0,1] op_sel_hi:[1,0,0] neg_lo:[0,0,1] neg_hi:[0,0,1]
	v_mov_b32_e32 v211, v77
	v_mov_b32_e32 v77, v73
	v_pk_add_f32 v[80:81], v[106:107], v[76:77]
	v_pk_mul_f32 v[76:77], v[184:185], s[38:39] op_sel_hi:[1,0]
	v_accvgpr_write_b32 a69, v15
	v_pk_fma_f32 v[84:85], v[180:181], s[36:37], v[76:77] op_sel:[0,0,1] op_sel_hi:[1,0,0]
	v_pk_fma_f32 v[76:77], v[180:181], s[36:37], v[76:77] op_sel:[0,0,1] op_sel_hi:[1,0,0] neg_lo:[0,0,1] neg_hi:[0,0,1]
	v_mov_b32_e32 v215, v85
	v_mov_b32_e32 v85, v77
	v_pk_add_f32 v[84:85], v[84:85], v[80:81]
	v_pk_mul_f32 v[80:81], v[176:177], s[52:53] op_sel_hi:[1,0]
	v_accvgpr_write_b32 a2, v220
	;; [unrolled: 7-line block ×6, first 2 shown]
	v_pk_fma_f32 v[204:205], v[224:225], s[24:25], v[96:97] op_sel:[0,0,1] op_sel_hi:[1,0,0]
	v_pk_fma_f32 v[96:97], v[224:225], s[24:25], v[96:97] op_sel:[0,0,1] op_sel_hi:[1,0,0] neg_lo:[0,0,1] neg_hi:[0,0,1]
	v_mov_b32_e32 v253, v205
	v_mov_b32_e32 v205, v97
	v_pk_add_f32 v[204:205], v[204:205], v[200:201]
	v_pk_mul_f32 v[200:201], v[82:83], s[48:49] op_sel_hi:[1,0]
	v_pk_mul_f32 v[112:113], v[184:185], s[52:53] op_sel_hi:[1,0]
	v_pk_fma_f32 v[208:209], v[216:217], s[16:17], v[200:201] op_sel:[0,0,1] op_sel_hi:[1,0,0]
	v_pk_fma_f32 v[200:201], v[216:217], s[16:17], v[200:201] op_sel:[0,0,1] op_sel_hi:[1,0,0] neg_lo:[0,0,1] neg_hi:[0,0,1]
	v_accvgpr_write_b32 a73, v209
	v_mov_b32_e32 v209, v201
	v_pk_add_f32 v[102:103], v[208:209], v[204:205]
	v_pk_mul_f32 v[204:205], v[192:193], s[22:23] op_sel_hi:[1,0]
	v_accvgpr_write_b32 a6, v110
	v_pk_fma_f32 v[208:209], v[188:189], s[20:21], v[204:205] op_sel:[0,0,1] op_sel_hi:[1,0,0]
	v_pk_fma_f32 v[204:205], v[188:189], s[20:21], v[204:205] op_sel:[0,0,1] op_sel_hi:[1,0,0] neg_lo:[0,0,1] neg_hi:[0,0,1]
	v_mov_b32_e32 v97, v209
	v_mov_b32_e32 v209, v205
	v_pk_add_f32 v[212:213], v[106:107], v[208:209]
	v_pk_mul_f32 v[208:209], v[184:185], s[54:55] op_sel_hi:[1,0]
	v_accvgpr_write_b32 a7, v111
	v_pk_fma_f32 v[14:15], v[180:181], s[30:31], v[208:209] op_sel:[0,0,1] op_sel_hi:[1,0,0]
	v_pk_fma_f32 v[208:209], v[180:181], s[30:31], v[208:209] op_sel:[0,0,1] op_sel_hi:[1,0,0] neg_lo:[0,0,1] neg_hi:[0,0,1]
	v_mov_b32_e32 v220, v14
	v_mov_b32_e32 v221, v209
	v_pk_add_f32 v[220:221], v[220:221], v[212:213]
	v_pk_mul_f32 v[212:213], v[176:177], s[48:49] op_sel_hi:[1,0]
	v_mov_b32_e32 v201, v15
	v_pk_fma_f32 v[226:227], v[104:105], s[16:17], v[212:213] op_sel:[0,0,1] op_sel_hi:[1,0,0]
	v_pk_fma_f32 v[212:213], v[104:105], s[16:17], v[212:213] op_sel:[0,0,1] op_sel_hi:[1,0,0] neg_lo:[0,0,1] neg_hi:[0,0,1]
	v_accvgpr_write_b32 a75, v227
	v_mov_b32_e32 v227, v213
	v_pk_add_f32 v[226:227], v[226:227], v[220:221]
	v_pk_mul_f32 v[220:221], v[254:255], s[50:51] op_sel_hi:[1,0]
	s_mov_b32 s50, 0x3f7ee86f
	v_pk_fma_f32 v[236:237], v[248:249], s[14:15], v[220:221] op_sel:[0,0,1] op_sel_hi:[1,0,0]
	v_pk_fma_f32 v[220:221], v[248:249], s[14:15], v[220:221] op_sel:[0,0,1] op_sel_hi:[1,0,0] neg_lo:[0,0,1] neg_hi:[0,0,1]
	v_accvgpr_write_b32 a77, v237
	v_mov_b32_e32 v237, v221
	v_pk_add_f32 v[236:237], v[236:237], v[226:227]
	v_pk_mul_f32 v[226:227], v[246:247], s[38:39] op_sel_hi:[1,0]
	v_accvgpr_write_b32 a10, v114
	v_pk_fma_f32 v[242:243], v[240:241], s[36:37], v[226:227] op_sel:[0,0,1] op_sel_hi:[1,0,0]
	v_pk_fma_f32 v[226:227], v[240:241], s[36:37], v[226:227] op_sel:[0,0,1] op_sel_hi:[1,0,0] neg_lo:[0,0,1] neg_hi:[0,0,1]
	v_accvgpr_write_b32 a79, v243
	v_mov_b32_e32 v243, v227
	v_pk_add_f32 v[242:243], v[242:243], v[236:237]
	v_pk_mul_f32 v[236:237], v[234:235], s[50:51] op_sel_hi:[1,0]
	v_accvgpr_write_b32 a11, v115
	;; [unrolled: 7-line block ×3, first 2 shown]
	v_pk_fma_f32 v[14:15], v[224:225], s[18:19], v[242:243] op_sel:[0,0,1] op_sel_hi:[1,0,0]
	v_pk_fma_f32 v[108:109], v[224:225], s[18:19], v[242:243] op_sel:[0,0,1] op_sel_hi:[1,0,0] neg_lo:[0,0,1] neg_hi:[0,0,1]
	v_mov_b32_e32 v242, v14
	v_mov_b32_e32 v243, v109
	v_pk_add_f32 v[242:243], v[242:243], v[250:251]
	v_pk_mul_f32 v[250:251], v[82:83], s[26:27] op_sel_hi:[1,0]
	v_accvgpr_write_b32 a83, v15
	v_pk_fma_f32 v[14:15], v[216:217], s[24:25], v[250:251] op_sel:[0,0,1] op_sel_hi:[1,0,0]
	v_pk_fma_f32 v[100:101], v[216:217], s[24:25], v[250:251] op_sel:[0,0,1] op_sel_hi:[1,0,0] neg_lo:[0,0,1] neg_hi:[0,0,1]
	v_mov_b32_e32 v250, v14
	v_mov_b32_e32 v251, v101
	v_pk_add_f32 v[242:243], v[250:251], v[242:243]
	ds_write2_b64 v186, v[102:103], v[242:243] offset0:4 offset1:5
	v_pk_mul_f32 v[102:103], v[192:193], s[26:27] op_sel_hi:[1,0]
	v_pk_fma_f32 v[242:243], v[180:181], s[20:21], v[112:113] op_sel:[0,0,1] op_sel_hi:[1,0,0]
	v_pk_fma_f32 v[250:251], v[188:189], s[24:25], v[102:103] op_sel:[0,0,1] op_sel_hi:[1,0,0]
	v_pk_fma_f32 v[102:103], v[188:189], s[24:25], v[102:103] op_sel:[0,0,1] op_sel_hi:[1,0,0] neg_lo:[0,0,1] neg_hi:[0,0,1]
	v_mov_b32_e32 v101, v251
	v_mov_b32_e32 v251, v103
	v_pk_fma_f32 v[112:113], v[180:181], s[20:21], v[112:113] op_sel:[0,0,1] op_sel_hi:[1,0,0] neg_lo:[0,0,1] neg_hi:[0,0,1]
	v_pk_add_f32 v[250:251], v[106:107], v[250:251]
	v_mov_b32_e32 v109, v243
	v_mov_b32_e32 v243, v113
	v_pk_add_f32 v[242:243], v[242:243], v[250:251]
	v_pk_mul_f32 v[250:251], v[176:177], s[28:29] op_sel_hi:[1,0]
	v_accvgpr_write_b32 a85, v15
	v_pk_fma_f32 v[14:15], v[104:105], s[18:19], v[250:251] op_sel:[0,0,1] op_sel_hi:[1,0,0]
	v_pk_fma_f32 v[110:111], v[104:105], s[18:19], v[250:251] op_sel:[0,0,1] op_sel_hi:[1,0,0] neg_lo:[0,0,1] neg_hi:[0,0,1]
	v_mov_b32_e32 v250, v14
	v_mov_b32_e32 v251, v111
	v_pk_add_f32 v[242:243], v[250:251], v[242:243]
	v_pk_mul_f32 v[250:251], v[254:255], s[34:35] op_sel_hi:[1,0]
	v_mov_b32_e32 v205, v15
	v_pk_fma_f32 v[14:15], v[248:249], s[30:31], v[250:251] op_sel:[0,0,1] op_sel_hi:[1,0,0]
	v_pk_fma_f32 v[114:115], v[248:249], s[30:31], v[250:251] op_sel:[0,0,1] op_sel_hi:[1,0,0] neg_lo:[0,0,1] neg_hi:[0,0,1]
	v_mov_b32_e32 v250, v14
	v_mov_b32_e32 v251, v115
	v_pk_add_f32 v[242:243], v[250:251], v[242:243]
	v_pk_mul_f32 v[250:251], v[246:247], s[50:51] op_sel_hi:[1,0]
	v_mov_b32_e32 v209, v15
	v_pk_fma_f32 v[14:15], v[240:241], s[10:11], v[250:251] op_sel:[0,0,1] op_sel_hi:[1,0,0]
	v_accvgpr_write_b32 a13, v117
	v_pk_fma_f32 v[116:117], v[240:241], s[10:11], v[250:251] op_sel:[0,0,1] op_sel_hi:[1,0,0] neg_lo:[0,0,1] neg_hi:[0,0,1]
	v_mov_b32_e32 v250, v14
	v_mov_b32_e32 v251, v117
	v_pk_add_f32 v[242:243], v[250:251], v[242:243]
	v_pk_mul_f32 v[250:251], v[234:235], s[42:43] op_sel_hi:[1,0]
	v_accvgpr_write_b32 a16, v120
	v_mov_b32_e32 v213, v15
	v_pk_fma_f32 v[14:15], v[232:233], s[16:17], v[250:251] op_sel:[0,0,1] op_sel_hi:[1,0,0]
	v_accvgpr_write_b32 a17, v121
	v_pk_fma_f32 v[120:121], v[232:233], s[16:17], v[250:251] op_sel:[0,0,1] op_sel_hi:[1,0,0] neg_lo:[0,0,1] neg_hi:[0,0,1]
	v_mov_b32_e32 v250, v14
	v_mov_b32_e32 v251, v121
	v_pk_add_f32 v[242:243], v[250:251], v[242:243]
	v_pk_mul_f32 v[250:251], v[78:79], s[38:39] op_sel_hi:[1,0]
	v_accvgpr_write_b32 a14, v118
	v_mov_b32_e32 v221, v15
	v_pk_fma_f32 v[14:15], v[224:225], s[36:37], v[250:251] op_sel:[0,0,1] op_sel_hi:[1,0,0]
	v_accvgpr_write_b32 a15, v119
	v_pk_fma_f32 v[118:119], v[224:225], s[36:37], v[250:251] op_sel:[0,0,1] op_sel_hi:[1,0,0] neg_lo:[0,0,1] neg_hi:[0,0,1]
	v_mov_b32_e32 v250, v14
	v_mov_b32_e32 v251, v119
	v_pk_add_f32 v[242:243], v[250:251], v[242:243]
	v_pk_mul_f32 v[250:251], v[82:83], s[44:45] op_sel_hi:[1,0]
	v_mov_b32_e32 v227, v15
	v_pk_fma_f32 v[14:15], v[216:217], s[14:15], v[250:251] op_sel:[0,0,1] op_sel_hi:[1,0,0]
	v_mov_b32_e32 v73, v124
	v_mov_b32_e32 v77, v125
	v_pk_fma_f32 v[124:125], v[216:217], s[14:15], v[250:251] op_sel:[0,0,1] op_sel_hi:[1,0,0] neg_lo:[0,0,1] neg_hi:[0,0,1]
	v_mov_b32_e32 v250, v14
	v_mov_b32_e32 v251, v125
	v_pk_add_f32 v[242:243], v[250:251], v[242:243]
	v_pk_mul_f32 v[250:251], v[192:193], s[34:35] op_sel_hi:[1,0]
	v_accvgpr_write_b32 a18, v122
	v_pk_fma_f32 v[86:87], v[188:189], s[30:31], v[250:251] op_sel:[0,0,1] op_sel_hi:[1,0,0]
	v_pk_fma_f32 v[250:251], v[188:189], s[30:31], v[250:251] op_sel:[0,0,1] op_sel_hi:[1,0,0] neg_lo:[0,0,1] neg_hi:[0,0,1]
	v_accvgpr_write_b32 a19, v123
	v_pk_mul_f32 v[122:123], v[184:185], s[44:45] op_sel_hi:[1,0]
	v_accvgpr_write_b32 a52, v74
	v_mov_b32_e32 v237, v15
	v_mov_b32_e32 v14, v86
	;; [unrolled: 1-line block ×5, first 2 shown]
	v_pk_fma_f32 v[126:127], v[180:181], s[14:15], v[122:123] op_sel:[0,0,1] op_sel_hi:[1,0,0]
	v_pk_fma_f32 v[122:123], v[180:181], s[14:15], v[122:123] op_sel:[0,0,1] op_sel_hi:[1,0,0] neg_lo:[0,0,1] neg_hi:[0,0,1]
	v_pk_add_f32 v[14:15], v[106:107], v[14:15]
	v_mov_b32_e32 v85, v128
	v_mov_b32_e32 v128, v126
	v_mov_b32_e32 v86, v129
	v_mov_b32_e32 v129, v123
	v_pk_add_f32 v[14:15], v[128:129], v[14:15]
	v_pk_mul_f32 v[128:129], v[176:177], s[40:41] op_sel_hi:[1,0]
	v_mov_b32_e32 v126, v74
	v_pk_fma_f32 v[74:75], v[104:105], s[10:11], v[128:129] op_sel:[0,0,1] op_sel_hi:[1,0,0]
	v_pk_fma_f32 v[128:129], v[104:105], s[10:11], v[128:129] op_sel:[0,0,1] op_sel_hi:[1,0,0] neg_lo:[0,0,1] neg_hi:[0,0,1]
	v_mov_b32_e32 v89, v130
	v_mov_b32_e32 v130, v74
	;; [unrolled: 1-line block ×4, first 2 shown]
	v_pk_add_f32 v[14:15], v[130:131], v[14:15]
	v_pk_mul_f32 v[130:131], v[254:255], s[56:57] op_sel_hi:[1,0]
	v_accvgpr_write_b32 a22, v178
	v_accvgpr_write_b32 a23, v179
	v_pk_fma_f32 v[178:179], v[248:249], s[24:25], v[130:131] op_sel:[0,0,1] op_sel_hi:[1,0,0]
	v_pk_fma_f32 v[130:131], v[248:249], s[24:25], v[130:131] op_sel:[0,0,1] op_sel_hi:[1,0,0] neg_lo:[0,0,1] neg_hi:[0,0,1]
	v_accvgpr_write_b32 a20, v132
	v_accvgpr_write_b32 a21, v133
	v_mov_b32_e32 v132, v178
	v_mov_b32_e32 v133, v131
	v_pk_add_f32 v[14:15], v[132:133], v[14:15]
	v_pk_mul_f32 v[132:133], v[246:247], s[28:29] op_sel_hi:[1,0]
	v_mov_b32_e32 v93, v186
	v_pk_fma_f32 v[186:187], v[240:241], s[18:19], v[132:133] op_sel:[0,0,1] op_sel_hi:[1,0,0]
	v_pk_fma_f32 v[132:133], v[240:241], s[18:19], v[132:133] op_sel:[0,0,1] op_sel_hi:[1,0,0] neg_lo:[0,0,1] neg_hi:[0,0,1]
	v_accvgpr_write_b32 a26, v182
	v_accvgpr_write_b32 a27, v183
	v_mov_b32_e32 v182, v186
	v_mov_b32_e32 v183, v133
	v_pk_add_f32 v[14:15], v[182:183], v[14:15]
	v_pk_mul_f32 v[182:183], v[234:235], s[38:39] op_sel_hi:[1,0]
	v_mov_b32_e32 v74, v218
	v_pk_fma_f32 v[194:195], v[232:233], s[36:37], v[182:183] op_sel:[0,0,1] op_sel_hi:[1,0,0]
	v_pk_fma_f32 v[182:183], v[232:233], s[36:37], v[182:183] op_sel:[0,0,1] op_sel_hi:[1,0,0] neg_lo:[0,0,1] neg_hi:[0,0,1]
	v_mov_b32_e32 v190, v194
	v_mov_b32_e32 v191, v183
	v_pk_add_f32 v[14:15], v[190:191], v[14:15]
	v_pk_mul_f32 v[190:191], v[78:79], s[48:49] op_sel_hi:[1,0]
	v_pk_mul_f32 v[184:185], v[184:185], s[46:47] op_sel_hi:[1,0]
	v_pk_fma_f32 v[202:203], v[224:225], s[16:17], v[190:191] op_sel:[0,0,1] op_sel_hi:[1,0,0]
	v_pk_fma_f32 v[190:191], v[224:225], s[16:17], v[190:191] op_sel:[0,0,1] op_sel_hi:[1,0,0] neg_lo:[0,0,1] neg_hi:[0,0,1]
	v_mov_b32_e32 v198, v202
	v_mov_b32_e32 v199, v191
	v_pk_add_f32 v[14:15], v[198:199], v[14:15]
	v_pk_mul_f32 v[198:199], v[82:83], s[22:23] op_sel_hi:[1,0]
	v_pk_mul_f32 v[176:177], v[176:177], s[34:35] op_sel_hi:[1,0]
	v_pk_fma_f32 v[218:219], v[216:217], s[20:21], v[198:199] op_sel:[0,0,1] op_sel_hi:[1,0,0]
	v_pk_fma_f32 v[198:199], v[216:217], s[20:21], v[198:199] op_sel:[0,0,1] op_sel_hi:[1,0,0] neg_lo:[0,0,1] neg_hi:[0,0,1]
	v_mov_b32_e32 v206, v218
	v_mov_b32_e32 v207, v199
	v_pk_add_f32 v[14:15], v[206:207], v[14:15]
	ds_write2_b64 v93, v[242:243], v[14:15] offset0:6 offset1:7
	v_pk_mul_f32 v[14:15], v[192:193], s[38:39] op_sel_hi:[1,0]
	v_pk_mul_f32 v[246:247], v[246:247], s[26:27] op_sel_hi:[1,0]
	v_pk_fma_f32 v[192:193], v[188:189], s[36:37], v[14:15] op_sel:[0,0,1] op_sel_hi:[1,0,0]
	v_pk_fma_f32 v[14:15], v[188:189], s[36:37], v[14:15] op_sel:[0,0,1] op_sel_hi:[1,0,0] neg_lo:[0,0,1] neg_hi:[0,0,1]
	v_pk_fma_f32 v[188:189], v[180:181], s[18:19], v[184:185] op_sel:[0,0,1] op_sel_hi:[1,0,0]
	v_pk_fma_f32 v[180:181], v[180:181], s[18:19], v[184:185] op_sel:[0,0,1] op_sel_hi:[1,0,0] neg_lo:[0,0,1] neg_hi:[0,0,1]
	v_mov_b32_e32 v184, v192
	v_mov_b32_e32 v185, v15
	v_pk_add_f32 v[184:185], v[106:107], v[184:185]
	v_mov_b32_e32 v206, v188
	v_mov_b32_e32 v207, v181
	v_pk_add_f32 v[184:185], v[206:207], v[184:185]
	v_pk_fma_f32 v[206:207], v[104:105], s[30:31], v[176:177] op_sel:[0,0,1] op_sel_hi:[1,0,0]
	v_pk_fma_f32 v[104:105], v[104:105], s[30:31], v[176:177] op_sel:[0,0,1] op_sel_hi:[1,0,0] neg_lo:[0,0,1] neg_hi:[0,0,1]
	v_mov_b32_e32 v176, v206
	v_mov_b32_e32 v177, v105
	v_pk_add_f32 v[176:177], v[176:177], v[184:185]
	v_pk_mul_f32 v[184:185], v[254:255], s[48:49] op_sel_hi:[1,0]
	v_mov_b32_e32 v15, v193
	v_pk_fma_f32 v[242:243], v[248:249], s[16:17], v[184:185] op_sel:[0,0,1] op_sel_hi:[1,0,0]
	v_pk_fma_f32 v[184:185], v[248:249], s[16:17], v[184:185] op_sel:[0,0,1] op_sel_hi:[1,0,0] neg_lo:[0,0,1] neg_hi:[0,0,1]
	v_mov_b32_e32 v248, v242
	v_mov_b32_e32 v249, v185
	v_pk_add_f32 v[176:177], v[248:249], v[176:177]
	v_pk_fma_f32 v[248:249], v[240:241], s[24:25], v[246:247] op_sel:[0,0,1] op_sel_hi:[1,0,0]
	v_pk_fma_f32 v[240:241], v[240:241], s[24:25], v[246:247] op_sel:[0,0,1] op_sel_hi:[1,0,0] neg_lo:[0,0,1] neg_hi:[0,0,1]
	v_mov_b32_e32 v246, v248
	v_mov_b32_e32 v247, v241
	v_pk_mul_f32 v[234:235], v[234:235], s[44:45] op_sel_hi:[1,0]
	v_mov_b32_e32 v181, v189
	v_pk_add_f32 v[14:15], v[106:107], v[14:15]
	v_pk_add_f32 v[176:177], v[246:247], v[176:177]
	v_pk_fma_f32 v[246:247], v[232:233], s[14:15], v[234:235] op_sel:[0,0,1] op_sel_hi:[1,0,0]
	v_pk_fma_f32 v[232:233], v[232:233], s[14:15], v[234:235] op_sel:[0,0,1] op_sel_hi:[1,0,0] neg_lo:[0,0,1] neg_hi:[0,0,1]
	v_pk_add_f32 v[14:15], v[180:181], v[14:15]
	v_mov_b32_e32 v105, v207
	v_mov_b32_e32 v234, v246
	;; [unrolled: 1-line block ×3, first 2 shown]
	v_pk_mul_f32 v[78:79], v[78:79], s[22:23] op_sel_hi:[1,0]
	v_pk_add_f32 v[14:15], v[104:105], v[14:15]
	v_mov_b32_e32 v185, v243
	v_pk_add_f32 v[176:177], v[234:235], v[176:177]
	v_pk_fma_f32 v[234:235], v[224:225], s[20:21], v[78:79] op_sel:[0,0,1] op_sel_hi:[1,0,0]
	v_pk_fma_f32 v[78:79], v[224:225], s[20:21], v[78:79] op_sel:[0,0,1] op_sel_hi:[1,0,0] neg_lo:[0,0,1] neg_hi:[0,0,1]
	v_pk_add_f32 v[14:15], v[184:185], v[14:15]
	v_mov_b32_e32 v241, v249
	v_mov_b32_e32 v224, v234
	;; [unrolled: 1-line block ×3, first 2 shown]
	v_pk_mul_f32 v[82:83], v[82:83], s[50:51] op_sel_hi:[1,0]
	v_pk_add_f32 v[14:15], v[240:241], v[14:15]
	v_mov_b32_e32 v233, v247
	v_pk_add_f32 v[176:177], v[224:225], v[176:177]
	v_pk_fma_f32 v[224:225], v[216:217], s[10:11], v[82:83] op_sel:[0,0,1] op_sel_hi:[1,0,0]
	v_pk_fma_f32 v[82:83], v[216:217], s[10:11], v[82:83] op_sel:[0,0,1] op_sel_hi:[1,0,0] neg_lo:[0,0,1] neg_hi:[0,0,1]
	v_pk_add_f32 v[14:15], v[232:233], v[14:15]
	v_mov_b32_e32 v79, v235
	v_mov_b32_e32 v216, v224
	;; [unrolled: 1-line block ×3, first 2 shown]
	v_pk_add_f32 v[14:15], v[78:79], v[14:15]
	v_mov_b32_e32 v83, v225
	v_pk_add_f32 v[176:177], v[216:217], v[176:177]
	v_pk_add_f32 v[14:15], v[82:83], v[14:15]
	v_mov_b32_e32 v251, v87
	v_mov_b32_e32 v103, v101
	ds_write2_b64 v93, v[176:177], v[14:15] offset0:8 offset1:9
	v_pk_add_f32 v[14:15], v[106:107], v[250:251]
	v_mov_b32_e32 v123, v127
	v_mov_b32_e32 v129, v75
	;; [unrolled: 1-line block ×3, first 2 shown]
	v_pk_add_f32 v[74:75], v[106:107], v[102:103]
	v_mov_b32_e32 v113, v109
	v_pk_add_f32 v[14:15], v[122:123], v[14:15]
	v_pk_add_f32 v[74:75], v[112:113], v[74:75]
	v_mov_b32_e32 v111, v205
	v_pk_add_f32 v[14:15], v[128:129], v[14:15]
	v_mov_b32_e32 v131, v179
	;; [unrolled: 2-line block ×11, first 2 shown]
	v_pk_add_f32 v[14:15], v[198:199], v[14:15]
	v_pk_add_f32 v[74:75], v[124:125], v[74:75]
	v_mov_b32_e32 v124, v73
	v_mov_b32_e32 v205, v97
	;; [unrolled: 1-line block ×4, first 2 shown]
	ds_write2_b64 v93, v[14:15], v[74:75] offset0:10 offset1:11
	v_pk_add_f32 v[14:15], v[106:107], v[204:205]
	v_mov_b32_e32 v209, v201
	v_pk_add_f32 v[72:73], v[106:107], v[72:73]
	v_mov_b32_e32 v77, v215
	v_mov_b32_e32 v127, v81
	v_pk_add_f32 v[14:15], v[208:209], v[14:15]
	v_accvgpr_read_b32 v213, a75
	v_pk_add_f32 v[72:73], v[76:77], v[72:73]
	v_mov_b32_e32 v81, v223
	v_mov_b32_e32 v128, v85
	v_pk_add_f32 v[14:15], v[212:213], v[14:15]
	v_accvgpr_read_b32 v221, a77
	;; [unrolled: 5-line block ×4, first 2 shown]
	v_pk_add_f32 v[72:73], v[88:89], v[72:73]
	v_mov_b32_e32 v93, v245
	v_pk_add_f32 v[14:15], v[236:237], v[14:15]
	v_accvgpr_read_b32 v109, a83
	v_pk_add_f32 v[72:73], v[92:93], v[72:73]
	v_mov_b32_e32 v97, v253
	v_pk_add_f32 v[14:15], v[108:109], v[14:15]
	v_accvgpr_read_b32 v101, a85
	v_pk_add_f32 v[72:73], v[96:97], v[72:73]
	v_accvgpr_read_b32 v201, a73
	v_pk_add_f32 v[14:15], v[100:101], v[14:15]
	v_pk_add_f32 v[72:73], v[200:201], v[72:73]
	v_mov_b32_e32 v211, v95
	ds_write2_b64 v74, v[14:15], v[72:73] offset0:12 offset1:13
	v_pk_add_f32 v[14:15], v[106:107], v[210:211]
	v_mov_b32_e32 v215, v99
	v_pk_add_f32 v[14:15], v[214:215], v[14:15]
	v_accvgpr_read_b32 v223, a61
	v_pk_add_f32 v[14:15], v[222:223], v[14:15]
	v_accvgpr_read_b32 v229, a63
	;; [unrolled: 2-line block ×5, first 2 shown]
	v_mov_b32_e32 v103, v13
	v_pk_add_f32 v[14:15], v[252:253], v[14:15]
	v_accvgpr_read_b32 v13, a71
	v_pk_add_f32 v[12:13], v[12:13], v[14:15]
	v_accvgpr_read_b32 v14, a44
	v_accvgpr_read_b32 v15, a45
	v_pk_add_f32 v[14:15], v[106:107], v[14:15]
	v_accvgpr_read_b32 v72, a46
	;; [unrolled: 3-line block ×6, first 2 shown]
	v_pk_add_f32 v[14:15], v[98:99], v[14:15]
	v_accvgpr_read_b32 v95, a57
	v_mov_b32_e32 v131, v91
	v_pk_add_f32 v[14:15], v[94:95], v[14:15]
	v_accvgpr_read_b32 v91, a59
	v_pk_add_f32 v[14:15], v[90:91], v[14:15]
	ds_write2_b64 v74, v[12:13], v[14:15] offset0:14 offset1:15
	v_accvgpr_read_b32 v12, a28
	v_accvgpr_read_b32 v13, a29
	v_pk_add_f32 v[12:13], v[106:107], v[12:13]
	v_accvgpr_read_b32 v14, a30
	v_accvgpr_read_b32 v15, a31
	v_pk_add_f32 v[12:13], v[14:15], v[12:13]
	;; [unrolled: 3-line block ×6, first 2 shown]
	v_accvgpr_read_b32 v14, a40
	v_accvgpr_read_b32 v15, a41
	;; [unrolled: 1-line block ×14, first 2 shown]
	v_pk_add_f32 v[12:13], v[14:15], v[12:13]
	v_accvgpr_read_b32 v14, a42
	v_accvgpr_read_b32 v15, a43
	;; [unrolled: 1-line block ×7, first 2 shown]
	v_mov_b32_e32 v129, v86
	v_accvgpr_read_b32 v178, a22
	v_accvgpr_read_b32 v132, a20
	;; [unrolled: 1-line block ×11, first 2 shown]
	v_pk_add_f32 v[12:13], v[14:15], v[12:13]
	ds_write_b64 v74, v[12:13] offset:128
.LBB0_13:
	s_or_b64 exec, exec, s[0:1]
	v_add_u32_e32 v98, 0x1000, v197
	s_waitcnt lgkmcnt(0)
	s_barrier
	ds_read2_b64 v[12:15], v98 offset0:168 offset1:253
	ds_read_b64 v[76:77], v197 offset:9520
	v_add_u32_e32 v99, 0x800, v197
	ds_read2_b64 v[72:75], v99 offset0:84 offset1:169
	v_add_u32_e32 v100, 0x1c00, v197
	s_waitcnt lgkmcnt(2)
	v_pk_mul_f32 v[20:21], v[20:21], v[14:15]
	s_mov_b32 s0, 0x3f5db3d7
	v_pk_fma_f32 v[80:81], v[174:175], v[14:15], v[20:21] op_sel:[0,0,1] op_sel_hi:[1,1,0]
	v_pk_fma_f32 v[14:15], v[174:175], v[14:15], v[20:21] op_sel:[0,0,1] op_sel_hi:[1,1,0] neg_lo:[0,0,1] neg_hi:[0,0,1]
	v_add_u32_e32 v101, 0xc00, v197
	v_mov_b32_e32 v81, v15
	s_waitcnt lgkmcnt(1)
	v_pk_mul_f32 v[14:15], v[22:23], v[76:77]
	v_add_u32_e32 v102, 0x1800, v197
	v_pk_fma_f32 v[82:83], v[172:173], v[76:77], v[14:15] op_sel:[0,0,1] op_sel_hi:[1,1,0]
	v_pk_fma_f32 v[14:15], v[172:173], v[76:77], v[14:15] op_sel:[0,0,1] op_sel_hi:[1,1,0] neg_lo:[0,0,1] neg_hi:[0,0,1]
	ds_read2_b64 v[76:79], v100 offset0:124 offset1:209
	v_mov_b32_e32 v83, v15
	v_pk_add_f32 v[14:15], v[80:81], v[82:83]
	v_pk_add_f32 v[20:21], v[80:81], v[82:83] neg_lo:[0,1] neg_hi:[0,1]
	s_waitcnt lgkmcnt(1)
	v_pk_fma_f32 v[14:15], v[14:15], 0.5, v[72:73] op_sel_hi:[1,0,1] neg_lo:[1,0,0] neg_hi:[1,0,0]
	v_pk_mul_f32 v[20:21], v[20:21], s[0:1] op_sel_hi:[1,0]
	v_pk_mul_f32 v[0:1], v[0:1], v[74:75]
	v_pk_add_f32 v[84:85], v[14:15], v[20:21] op_sel:[0,1] op_sel_hi:[1,0]
	v_pk_add_f32 v[86:87], v[14:15], v[20:21] op_sel:[0,1] op_sel_hi:[1,0] neg_lo:[0,1] neg_hi:[0,1]
	v_pk_mul_f32 v[14:15], v[16:17], v[12:13]
	ds_read2_b64 v[20:23], v197 offset0:170 offset1:255
	v_pk_fma_f32 v[88:89], v[170:171], v[12:13], v[14:15] op_sel:[0,0,1] op_sel_hi:[1,1,0]
	v_pk_fma_f32 v[12:13], v[170:171], v[12:13], v[14:15] op_sel:[0,0,1] op_sel_hi:[1,1,0] neg_lo:[0,0,1] neg_hi:[0,0,1]
	s_movk_i32 s11, 0x1000
	v_mov_b32_e32 v89, v13
	s_waitcnt lgkmcnt(1)
	v_pk_mul_f32 v[12:13], v[18:19], v[78:79]
	s_mov_b32 s10, 0x3f737871
	v_pk_fma_f32 v[18:19], v[168:169], v[78:79], v[12:13] op_sel:[0,0,1] op_sel_hi:[1,1,0]
	v_pk_fma_f32 v[12:13], v[168:169], v[78:79], v[12:13] op_sel:[0,0,1] op_sel_hi:[1,1,0] neg_lo:[0,0,1] neg_hi:[0,0,1]
	s_mov_b32 s14, 0x3f167918
	v_mov_b32_e32 v19, v13
	v_pk_add_f32 v[12:13], v[88:89], v[18:19]
	v_pk_add_f32 v[78:79], v[88:89], v[18:19] neg_lo:[0,1] neg_hi:[0,1]
	s_waitcnt lgkmcnt(0)
	v_pk_fma_f32 v[16:17], v[12:13], 0.5, v[22:23] op_sel_hi:[1,0,1] neg_lo:[1,0,0] neg_hi:[1,0,0]
	ds_read2_b64 v[12:15], v101 offset0:126 offset1:211
	v_pk_mul_f32 v[78:79], v[78:79], s[0:1] op_sel_hi:[1,0]
	s_waitcnt lgkmcnt(0)
	v_pk_mul_f32 v[8:9], v[8:9], v[14:15]
	s_nop 0
	v_pk_fma_f32 v[92:93], v[166:167], v[14:15], v[8:9] op_sel:[0,0,1] op_sel_hi:[1,1,0]
	v_pk_fma_f32 v[8:9], v[166:167], v[14:15], v[8:9] op_sel:[0,0,1] op_sel_hi:[1,1,0] neg_lo:[0,0,1] neg_hi:[0,0,1]
	v_pk_add_f32 v[90:91], v[16:17], v[78:79] op_sel:[0,1] op_sel_hi:[1,0]
	v_mov_b32_e32 v93, v9
	v_pk_mul_f32 v[8:9], v[10:11], v[76:77]
	v_pk_add_f32 v[78:79], v[16:17], v[78:79] op_sel:[0,1] op_sel_hi:[1,0] neg_lo:[0,1] neg_hi:[0,1]
	v_pk_fma_f32 v[94:95], v[164:165], v[76:77], v[8:9] op_sel:[0,0,1] op_sel_hi:[1,1,0]
	v_pk_fma_f32 v[8:9], v[164:165], v[76:77], v[8:9] op_sel:[0,0,1] op_sel_hi:[1,1,0] neg_lo:[0,0,1] neg_hi:[0,0,1]
	ds_read2_b64 v[14:17], v102 offset0:82 offset1:167
	v_mov_b32_e32 v95, v9
	v_pk_add_f32 v[8:9], v[20:21], v[92:93]
	v_pk_mul_f32 v[4:5], v[4:5], v[12:13]
	v_pk_add_f32 v[76:77], v[8:9], v[94:95]
	ds_read2_b64 v[8:11], v197 offset1:85
	v_pk_fma_f32 v[96:97], v[162:163], v[12:13], v[4:5] op_sel:[0,0,1] op_sel_hi:[1,1,0]
	v_pk_fma_f32 v[4:5], v[162:163], v[12:13], v[4:5] op_sel:[0,0,1] op_sel_hi:[1,1,0] neg_lo:[0,0,1] neg_hi:[0,0,1]
	v_pk_fma_f32 v[12:13], v[158:159], v[74:75], v[0:1] op_sel:[0,0,1] op_sel_hi:[1,1,0]
	v_pk_fma_f32 v[0:1], v[158:159], v[74:75], v[0:1] op_sel:[0,0,1] op_sel_hi:[1,1,0] neg_lo:[0,0,1] neg_hi:[0,0,1]
	v_mov_b32_e32 v97, v5
	v_mov_b32_e32 v13, v1
	s_waitcnt lgkmcnt(1)
	v_pk_mul_f32 v[0:1], v[2:3], v[14:15]
	v_pk_mul_f32 v[4:5], v[6:7], v[16:17]
	v_pk_fma_f32 v[2:3], v[156:157], v[14:15], v[0:1] op_sel:[0,0,1] op_sel_hi:[1,1,0]
	v_pk_fma_f32 v[0:1], v[156:157], v[14:15], v[0:1] op_sel:[0,0,1] op_sel_hi:[1,1,0] neg_lo:[0,0,1] neg_hi:[0,0,1]
	v_pk_fma_f32 v[6:7], v[160:161], v[16:17], v[4:5] op_sel:[0,0,1] op_sel_hi:[1,1,0]
	v_mov_b32_e32 v3, v1
	s_waitcnt lgkmcnt(0)
	v_pk_add_f32 v[0:1], v[8:9], v[12:13]
	v_pk_add_f32 v[14:15], v[12:13], v[2:3]
	;; [unrolled: 1-line block ×3, first 2 shown]
	v_pk_add_f32 v[2:3], v[12:13], v[2:3] neg_lo:[0,1] neg_hi:[0,1]
	v_pk_fma_f32 v[8:9], v[14:15], 0.5, v[8:9] op_sel_hi:[1,0,1] neg_lo:[1,0,0] neg_hi:[1,0,0]
	v_pk_mul_f32 v[2:3], v[2:3], s[0:1] op_sel_hi:[1,0]
	v_pk_fma_f32 v[4:5], v[160:161], v[16:17], v[4:5] op_sel:[0,0,1] op_sel_hi:[1,1,0] neg_lo:[0,0,1] neg_hi:[0,0,1]
	v_pk_add_f32 v[12:13], v[8:9], v[2:3] op_sel:[0,1] op_sel_hi:[1,0] neg_lo:[0,1] neg_hi:[0,1]
	v_pk_add_f32 v[2:3], v[8:9], v[2:3] op_sel:[0,1] op_sel_hi:[1,0]
	v_mov_b32_e32 v7, v5
	v_mov_b32_e32 v8, v12
	v_mov_b32_e32 v9, v3
	v_mov_b32_e32 v3, v13
	s_barrier
	ds_write2_b64 v128, v[0:1], v[8:9] offset1:17
	ds_write_b64 v128, v[2:3] offset:272
	v_pk_add_f32 v[0:1], v[96:97], v[6:7]
	v_pk_add_f32 v[2:3], v[96:97], v[6:7] neg_lo:[0,1] neg_hi:[0,1]
	v_pk_add_f32 v[4:5], v[10:11], v[96:97]
	v_pk_fma_f32 v[0:1], v[0:1], 0.5, v[10:11] op_sel_hi:[1,0,1] neg_lo:[1,0,0] neg_hi:[1,0,0]
	v_pk_mul_f32 v[2:3], v[2:3], s[0:1] op_sel_hi:[1,0]
	v_pk_add_f32 v[4:5], v[4:5], v[6:7]
	v_pk_add_f32 v[6:7], v[0:1], v[2:3] op_sel:[0,1] op_sel_hi:[1,0] neg_lo:[0,1] neg_hi:[0,1]
	v_pk_add_f32 v[0:1], v[0:1], v[2:3] op_sel:[0,1] op_sel_hi:[1,0]
	v_mov_b32_e32 v2, v6
	v_mov_b32_e32 v3, v1
	;; [unrolled: 1-line block ×3, first 2 shown]
	ds_write2_b64 v127, v[4:5], v[2:3] offset1:17
	ds_write_b64 v127, v[0:1] offset:272
	v_pk_add_f32 v[0:1], v[92:93], v[94:95]
	v_pk_add_f32 v[2:3], v[92:93], v[94:95] neg_lo:[0,1] neg_hi:[0,1]
	v_pk_fma_f32 v[0:1], v[0:1], 0.5, v[20:21] op_sel_hi:[1,0,1] neg_lo:[1,0,0] neg_hi:[1,0,0]
	v_pk_mul_f32 v[2:3], v[2:3], s[0:1] op_sel_hi:[1,0]
	s_mov_b32 s0, 0x3e9e377a
	v_pk_add_f32 v[4:5], v[0:1], v[2:3] op_sel:[0,1] op_sel_hi:[1,0] neg_lo:[0,1] neg_hi:[0,1]
	v_pk_add_f32 v[0:1], v[0:1], v[2:3] op_sel:[0,1] op_sel_hi:[1,0]
	v_mov_b32_e32 v2, v4
	v_mov_b32_e32 v3, v1
	;; [unrolled: 1-line block ×3, first 2 shown]
	ds_write_b64 v125, v[0:1] offset:272
	v_pk_add_f32 v[0:1], v[22:23], v[88:89]
	ds_write2_b64 v125, v[76:77], v[2:3] offset1:17
	v_pk_add_f32 v[0:1], v[0:1], v[18:19]
	v_mov_b32_e32 v2, v78
	v_mov_b32_e32 v3, v91
	ds_write2_b64 v124, v[0:1], v[2:3] offset1:17
	v_pk_add_f32 v[0:1], v[72:73], v[80:81]
	v_mov_b32_e32 v91, v79
	v_pk_add_f32 v[0:1], v[0:1], v[82:83]
	v_mov_b32_e32 v2, v86
	v_mov_b32_e32 v3, v85
	;; [unrolled: 1-line block ×3, first 2 shown]
	ds_write_b64 v124, v[90:91] offset:272
	ds_write2_b64 v103, v[0:1], v[2:3] offset1:17
	ds_write_b64 v103, v[84:85] offset:272
	s_waitcnt lgkmcnt(0)
	s_barrier
	ds_read2_b64 v[0:3], v99 offset0:84 offset1:169
	ds_read2_b64 v[4:7], v197 offset0:170 offset1:255
	;; [unrolled: 1-line block ×4, first 2 shown]
	ds_read_b64 v[16:17], v197 offset:9520
	s_waitcnt lgkmcnt(4)
	v_pk_mul_f32 v[18:19], v[44:45], v[2:3]
	v_pk_mul_f32 v[36:37], v[36:37], v[0:1]
	v_pk_fma_f32 v[22:23], v[154:155], v[2:3], v[18:19] op_sel:[0,0,1] op_sel_hi:[1,1,0]
	v_pk_fma_f32 v[2:3], v[154:155], v[2:3], v[18:19] op_sel:[0,0,1] op_sel_hi:[1,1,0] neg_lo:[0,0,1] neg_hi:[0,0,1]
	v_pk_fma_f32 v[72:73], v[146:147], v[0:1], v[36:37] op_sel:[0,0,1] op_sel_hi:[1,1,0]
	v_mov_b32_e32 v23, v3
	s_waitcnt lgkmcnt(2)
	v_pk_mul_f32 v[2:3], v[46:47], v[8:9]
	v_pk_fma_f32 v[0:1], v[146:147], v[0:1], v[36:37] op_sel:[0,0,1] op_sel_hi:[1,1,0] neg_lo:[0,0,1] neg_hi:[0,0,1]
	v_pk_fma_f32 v[44:45], v[152:153], v[8:9], v[2:3] op_sel:[0,0,1] op_sel_hi:[1,1,0]
	v_pk_fma_f32 v[2:3], v[152:153], v[8:9], v[2:3] op_sel:[0,0,1] op_sel_hi:[1,1,0] neg_lo:[0,0,1] neg_hi:[0,0,1]
	v_mov_b32_e32 v73, v1
	v_mov_b32_e32 v45, v3
	s_waitcnt lgkmcnt(1)
	v_pk_mul_f32 v[2:3], v[40:41], v[14:15]
	v_pk_mul_f32 v[28:29], v[28:29], v[6:7]
	v_pk_fma_f32 v[8:9], v[150:151], v[14:15], v[2:3] op_sel:[0,0,1] op_sel_hi:[1,1,0]
	v_pk_fma_f32 v[2:3], v[150:151], v[14:15], v[2:3] op_sel:[0,0,1] op_sel_hi:[1,1,0] neg_lo:[0,0,1] neg_hi:[0,0,1]
	s_nop 0
	v_mov_b32_e32 v9, v3
	s_waitcnt lgkmcnt(0)
	v_pk_mul_f32 v[2:3], v[42:43], v[16:17]
	s_nop 0
	v_pk_fma_f32 v[46:47], v[148:149], v[16:17], v[2:3] op_sel:[0,0,1] op_sel_hi:[1,1,0]
	v_pk_fma_f32 v[2:3], v[148:149], v[16:17], v[2:3] op_sel:[0,0,1] op_sel_hi:[1,1,0] neg_lo:[0,0,1] neg_hi:[0,0,1]
	ds_read2_b64 v[14:17], v197 offset1:85
	ds_read2_b64 v[18:21], v101 offset0:126 offset1:211
	ds_read2_b64 v[40:43], v100 offset0:124 offset1:209
	s_waitcnt lgkmcnt(0)
	s_barrier
	v_pk_mul_f32 v[0:1], v[38:39], v[20:21]
	v_mov_b32_e32 v47, v3
	v_pk_fma_f32 v[36:37], v[144:145], v[20:21], v[0:1] op_sel:[0,0,1] op_sel_hi:[1,1,0]
	v_pk_fma_f32 v[0:1], v[144:145], v[20:21], v[0:1] op_sel:[0,0,1] op_sel_hi:[1,1,0] neg_lo:[0,0,1] neg_hi:[0,0,1]
	v_pk_add_f32 v[2:3], v[4:5], v[22:23]
	v_mov_b32_e32 v37, v1
	v_pk_mul_f32 v[0:1], v[32:33], v[12:13]
	v_pk_fma_f32 v[32:33], v[138:139], v[6:7], v[28:29] op_sel:[0,0,1] op_sel_hi:[1,1,0]
	v_pk_fma_f32 v[6:7], v[138:139], v[6:7], v[28:29] op_sel:[0,0,1] op_sel_hi:[1,1,0] neg_lo:[0,0,1] neg_hi:[0,0,1]
	v_pk_fma_f32 v[20:21], v[142:143], v[12:13], v[0:1] op_sel:[0,0,1] op_sel_hi:[1,1,0]
	v_mov_b32_e32 v33, v7
	v_pk_mul_f32 v[6:7], v[30:31], v[18:19]
	v_pk_fma_f32 v[0:1], v[142:143], v[12:13], v[0:1] op_sel:[0,0,1] op_sel_hi:[1,1,0] neg_lo:[0,0,1] neg_hi:[0,0,1]
	v_pk_fma_f32 v[28:29], v[136:137], v[18:19], v[6:7] op_sel:[0,0,1] op_sel_hi:[1,1,0]
	v_pk_fma_f32 v[6:7], v[136:137], v[18:19], v[6:7] op_sel:[0,0,1] op_sel_hi:[1,1,0] neg_lo:[0,0,1] neg_hi:[0,0,1]
	v_mov_b32_e32 v21, v1
	v_mov_b32_e32 v29, v7
	v_pk_mul_f32 v[6:7], v[24:25], v[10:11]
	v_pk_mul_f32 v[0:1], v[34:35], v[42:43]
	v_pk_fma_f32 v[18:19], v[134:135], v[10:11], v[6:7] op_sel:[0,0,1] op_sel_hi:[1,1,0]
	v_pk_fma_f32 v[6:7], v[134:135], v[10:11], v[6:7] op_sel:[0,0,1] op_sel_hi:[1,1,0] neg_lo:[0,0,1] neg_hi:[0,0,1]
	v_pk_fma_f32 v[12:13], v[140:141], v[42:43], v[0:1] op_sel:[0,0,1] op_sel_hi:[1,1,0]
	v_mov_b32_e32 v19, v7
	v_pk_mul_f32 v[6:7], v[26:27], v[40:41]
	v_pk_add_f32 v[24:25], v[28:29], v[18:19]
	v_pk_fma_f32 v[10:11], v[230:231], v[40:41], v[6:7] op_sel:[0,0,1] op_sel_hi:[1,1,0]
	v_pk_fma_f32 v[6:7], v[230:231], v[40:41], v[6:7] op_sel:[0,0,1] op_sel_hi:[1,1,0] neg_lo:[0,0,1] neg_hi:[0,0,1]
	v_pk_fma_f32 v[0:1], v[140:141], v[42:43], v[0:1] op_sel:[0,0,1] op_sel_hi:[1,1,0] neg_lo:[0,0,1] neg_hi:[0,0,1]
	v_mov_b32_e32 v11, v7
	v_pk_add_f32 v[26:27], v[32:33], v[10:11] neg_lo:[0,1] neg_hi:[0,1]
	v_pk_fma_f32 v[24:25], v[24:25], 0.5, v[14:15] op_sel_hi:[1,0,1] neg_lo:[1,0,0] neg_hi:[1,0,0]
	v_pk_mul_f32 v[30:31], v[26:27], s[10:11] op_sel_hi:[1,0]
	v_pk_add_f32 v[34:35], v[28:29], v[18:19] neg_lo:[0,1] neg_hi:[0,1]
	v_pk_add_f32 v[40:41], v[32:33], v[28:29] neg_lo:[0,1] neg_hi:[0,1]
	;; [unrolled: 1-line block ×3, first 2 shown]
	v_pk_add_f32 v[6:7], v[14:15], v[32:33]
	v_pk_mul_f32 v[38:39], v[34:35], s[14:15] op_sel_hi:[1,0]
	v_pk_add_f32 v[40:41], v[40:41], v[42:43]
	v_pk_add_f32 v[42:43], v[24:25], v[30:31] op_sel:[0,1] op_sel_hi:[1,0] neg_lo:[0,1] neg_hi:[0,1]
	v_pk_add_f32 v[24:25], v[24:25], v[30:31] op_sel:[0,1] op_sel_hi:[1,0]
	v_pk_add_f32 v[6:7], v[6:7], v[28:29]
	v_pk_add_f32 v[24:25], v[24:25], v[38:39] op_sel:[0,1] op_sel_hi:[1,0]
	v_pk_add_f32 v[30:31], v[42:43], v[38:39] op_sel:[0,1] op_sel_hi:[1,0] neg_lo:[0,1] neg_hi:[0,1]
	v_pk_add_f32 v[6:7], v[6:7], v[18:19]
	v_mov_b32_e32 v38, v30
	v_mov_b32_e32 v39, v25
	v_pk_add_f32 v[6:7], v[6:7], v[10:11]
	v_pk_fma_f32 v[38:39], v[40:41], s[0:1], v[38:39] op_sel_hi:[1,0,1]
	ds_write2_b64 v130, v[6:7], v[38:39] offset1:51
	v_pk_add_f32 v[6:7], v[32:33], v[10:11]
	v_pk_add_f32 v[10:11], v[18:19], v[10:11] neg_lo:[0,1] neg_hi:[0,1]
	v_pk_fma_f32 v[6:7], v[6:7], 0.5, v[14:15] op_sel_hi:[1,0,1] neg_lo:[1,0,0] neg_hi:[1,0,0]
	v_pk_add_f32 v[14:15], v[28:29], v[32:33] neg_lo:[0,1] neg_hi:[0,1]
	v_pk_mul_f32 v[18:19], v[26:27], s[14:15] op_sel_hi:[1,0]
	v_pk_add_f32 v[10:11], v[14:15], v[10:11]
	v_pk_mul_f32 v[14:15], v[34:35], s[10:11] op_sel_hi:[1,0]
	v_mov_b32_e32 v25, v31
	v_pk_add_f32 v[26:27], v[6:7], v[14:15] op_sel:[0,1] op_sel_hi:[1,0]
	v_pk_add_f32 v[6:7], v[6:7], v[14:15] op_sel:[0,1] op_sel_hi:[1,0] neg_lo:[0,1] neg_hi:[0,1]
	v_pk_add_f32 v[14:15], v[26:27], v[18:19] op_sel:[0,1] op_sel_hi:[1,0] neg_lo:[0,1] neg_hi:[0,1]
	v_pk_add_f32 v[6:7], v[6:7], v[18:19] op_sel:[0,1] op_sel_hi:[1,0]
	v_mov_b32_e32 v18, v14
	v_mov_b32_e32 v19, v7
	;; [unrolled: 1-line block ×3, first 2 shown]
	v_pk_fma_f32 v[18:19], v[10:11], s[0:1], v[18:19] op_sel_hi:[1,0,1]
	v_pk_fma_f32 v[6:7], v[10:11], s[0:1], v[6:7] op_sel_hi:[1,0,1]
	v_mov_b32_e32 v13, v1
	ds_write2_b64 v130, v[18:19], v[6:7] offset0:102 offset1:153
	v_pk_fma_f32 v[6:7], v[40:41], s[0:1], v[24:25] op_sel_hi:[1,0,1]
	ds_write_b64 v130, v[6:7] offset:1632
	v_pk_add_f32 v[6:7], v[36:37], v[20:21]
	v_pk_add_f32 v[10:11], v[72:73], v[12:13] neg_lo:[0,1] neg_hi:[0,1]
	v_pk_fma_f32 v[6:7], v[6:7], 0.5, v[16:17] op_sel_hi:[1,0,1] neg_lo:[1,0,0] neg_hi:[1,0,0]
	v_pk_mul_f32 v[14:15], v[10:11], s[10:11] op_sel_hi:[1,0]
	v_pk_add_f32 v[18:19], v[36:37], v[20:21] neg_lo:[0,1] neg_hi:[0,1]
	v_pk_add_f32 v[26:27], v[72:73], v[36:37] neg_lo:[0,1] neg_hi:[0,1]
	;; [unrolled: 1-line block ×3, first 2 shown]
	v_pk_add_f32 v[0:1], v[16:17], v[72:73]
	v_pk_mul_f32 v[24:25], v[18:19], s[14:15] op_sel_hi:[1,0]
	v_pk_add_f32 v[26:27], v[26:27], v[28:29]
	v_pk_add_f32 v[28:29], v[6:7], v[14:15] op_sel:[0,1] op_sel_hi:[1,0] neg_lo:[0,1] neg_hi:[0,1]
	v_pk_add_f32 v[6:7], v[6:7], v[14:15] op_sel:[0,1] op_sel_hi:[1,0]
	v_pk_add_f32 v[0:1], v[0:1], v[36:37]
	v_pk_add_f32 v[6:7], v[6:7], v[24:25] op_sel:[0,1] op_sel_hi:[1,0]
	v_pk_add_f32 v[14:15], v[28:29], v[24:25] op_sel:[0,1] op_sel_hi:[1,0] neg_lo:[0,1] neg_hi:[0,1]
	v_pk_add_f32 v[0:1], v[0:1], v[20:21]
	v_mov_b32_e32 v24, v14
	v_mov_b32_e32 v25, v7
	v_pk_add_f32 v[0:1], v[0:1], v[12:13]
	v_pk_fma_f32 v[24:25], v[26:27], s[0:1], v[24:25] op_sel_hi:[1,0,1]
	ds_write2_b64 v129, v[0:1], v[24:25] offset1:51
	v_pk_add_f32 v[0:1], v[72:73], v[12:13]
	v_pk_add_f32 v[12:13], v[20:21], v[12:13] neg_lo:[0,1] neg_hi:[0,1]
	v_pk_fma_f32 v[0:1], v[0:1], 0.5, v[16:17] op_sel_hi:[1,0,1] neg_lo:[1,0,0] neg_hi:[1,0,0]
	v_pk_add_f32 v[16:17], v[36:37], v[72:73] neg_lo:[0,1] neg_hi:[0,1]
	v_pk_mul_f32 v[10:11], v[10:11], s[14:15] op_sel_hi:[1,0]
	v_pk_add_f32 v[12:13], v[16:17], v[12:13]
	v_pk_mul_f32 v[16:17], v[18:19], s[10:11] op_sel_hi:[1,0]
	v_mov_b32_e32 v7, v15
	v_pk_add_f32 v[18:19], v[0:1], v[16:17] op_sel:[0,1] op_sel_hi:[1,0]
	v_pk_add_f32 v[0:1], v[0:1], v[16:17] op_sel:[0,1] op_sel_hi:[1,0] neg_lo:[0,1] neg_hi:[0,1]
	v_pk_add_f32 v[2:3], v[2:3], v[44:45]
	v_pk_add_f32 v[0:1], v[0:1], v[10:11] op_sel:[0,1] op_sel_hi:[1,0]
	v_pk_add_f32 v[10:11], v[18:19], v[10:11] op_sel:[0,1] op_sel_hi:[1,0] neg_lo:[0,1] neg_hi:[0,1]
	v_mov_b32_e32 v17, v1
	v_mov_b32_e32 v16, v10
	v_mov_b32_e32 v1, v11
	v_pk_fma_f32 v[16:17], v[12:13], s[0:1], v[16:17] op_sel_hi:[1,0,1]
	v_pk_fma_f32 v[0:1], v[12:13], s[0:1], v[0:1] op_sel_hi:[1,0,1]
	ds_write2_b64 v129, v[16:17], v[0:1] offset0:102 offset1:153
	v_pk_fma_f32 v[0:1], v[26:27], s[0:1], v[6:7] op_sel_hi:[1,0,1]
	ds_write_b64 v129, v[0:1] offset:1632
	v_pk_add_f32 v[0:1], v[44:45], v[8:9]
	v_pk_add_f32 v[6:7], v[22:23], v[46:47] neg_lo:[0,1] neg_hi:[0,1]
	v_pk_fma_f32 v[0:1], v[0:1], 0.5, v[4:5] op_sel_hi:[1,0,1] neg_lo:[1,0,0] neg_hi:[1,0,0]
	v_pk_mul_f32 v[10:11], v[6:7], s[10:11] op_sel_hi:[1,0]
	v_pk_add_f32 v[12:13], v[44:45], v[8:9] neg_lo:[0,1] neg_hi:[0,1]
	v_pk_add_f32 v[16:17], v[22:23], v[44:45] neg_lo:[0,1] neg_hi:[0,1]
	;; [unrolled: 1-line block ×3, first 2 shown]
	v_pk_mul_f32 v[14:15], v[12:13], s[14:15] op_sel_hi:[1,0]
	v_pk_add_f32 v[16:17], v[16:17], v[18:19]
	v_pk_add_f32 v[18:19], v[0:1], v[10:11] op_sel:[0,1] op_sel_hi:[1,0] neg_lo:[0,1] neg_hi:[0,1]
	v_pk_add_f32 v[0:1], v[0:1], v[10:11] op_sel:[0,1] op_sel_hi:[1,0]
	v_pk_add_f32 v[10:11], v[18:19], v[14:15] op_sel:[0,1] op_sel_hi:[1,0] neg_lo:[0,1] neg_hi:[0,1]
	v_pk_add_f32 v[0:1], v[0:1], v[14:15] op_sel:[0,1] op_sel_hi:[1,0]
	v_pk_add_f32 v[2:3], v[2:3], v[8:9]
	v_mov_b32_e32 v14, v10
	v_mov_b32_e32 v15, v1
	v_pk_add_f32 v[2:3], v[2:3], v[46:47]
	v_pk_fma_f32 v[14:15], v[16:17], s[0:1], v[14:15] op_sel_hi:[1,0,1]
	ds_write2_b64 v126, v[2:3], v[14:15] offset1:51
	v_pk_add_f32 v[2:3], v[22:23], v[46:47]
	v_pk_add_f32 v[8:9], v[8:9], v[46:47] neg_lo:[0,1] neg_hi:[0,1]
	v_pk_fma_f32 v[2:3], v[2:3], 0.5, v[4:5] op_sel_hi:[1,0,1] neg_lo:[1,0,0] neg_hi:[1,0,0]
	v_pk_add_f32 v[4:5], v[44:45], v[22:23] neg_lo:[0,1] neg_hi:[0,1]
	v_pk_mul_f32 v[6:7], v[6:7], s[14:15] op_sel_hi:[1,0]
	v_pk_add_f32 v[4:5], v[4:5], v[8:9]
	v_pk_mul_f32 v[8:9], v[12:13], s[10:11] op_sel_hi:[1,0]
	v_mov_b32_e32 v1, v11
	v_pk_add_f32 v[12:13], v[2:3], v[8:9] op_sel:[0,1] op_sel_hi:[1,0]
	v_pk_add_f32 v[2:3], v[2:3], v[8:9] op_sel:[0,1] op_sel_hi:[1,0] neg_lo:[0,1] neg_hi:[0,1]
	v_pk_fma_f32 v[0:1], v[16:17], s[0:1], v[0:1] op_sel_hi:[1,0,1]
	v_pk_add_f32 v[2:3], v[2:3], v[6:7] op_sel:[0,1] op_sel_hi:[1,0]
	v_pk_add_f32 v[6:7], v[12:13], v[6:7] op_sel:[0,1] op_sel_hi:[1,0] neg_lo:[0,1] neg_hi:[0,1]
	v_mov_b32_e32 v9, v3
	v_mov_b32_e32 v8, v6
	;; [unrolled: 1-line block ×3, first 2 shown]
	v_pk_fma_f32 v[8:9], v[4:5], s[0:1], v[8:9] op_sel_hi:[1,0,1]
	v_pk_fma_f32 v[2:3], v[4:5], s[0:1], v[2:3] op_sel_hi:[1,0,1]
	ds_write2_b64 v126, v[8:9], v[2:3] offset0:102 offset1:153
	ds_write_b64 v126, v[0:1] offset:1632
	s_waitcnt lgkmcnt(0)
	s_barrier
	ds_read2_b64 v[0:3], v197 offset0:170 offset1:255
	ds_read2_b64 v[4:7], v197 offset1:85
	ds_read2_b64 v[8:11], v101 offset0:126 offset1:211
	ds_read2_b64 v[12:15], v98 offset0:168 offset1:253
	ds_read2_b64 v[16:19], v100 offset0:124 offset1:209
	s_waitcnt lgkmcnt(4)
	v_pk_mul_f32 v[20:21], v[68:69], v[2:3]
	s_nop 0
	v_pk_fma_f32 v[24:25], v[182:183], v[2:3], v[20:21] op_sel:[0,0,1] op_sel_hi:[1,1,0]
	v_pk_fma_f32 v[2:3], v[182:183], v[2:3], v[20:21] op_sel:[0,0,1] op_sel_hi:[1,1,0] neg_lo:[0,0,1] neg_hi:[0,0,1]
	ds_read2_b64 v[20:23], v102 offset0:82 offset1:167
	v_mov_b32_e32 v25, v3
	s_waitcnt lgkmcnt(3)
	v_pk_mul_f32 v[2:3], v[70:71], v[8:9]
	s_nop 0
	v_pk_fma_f32 v[26:27], v[180:181], v[8:9], v[2:3] op_sel:[0,0,1] op_sel_hi:[1,1,0]
	v_pk_fma_f32 v[2:3], v[180:181], v[8:9], v[2:3] op_sel:[0,0,1] op_sel_hi:[1,1,0] neg_lo:[0,0,1] neg_hi:[0,0,1]
	s_nop 0
	v_mov_b32_e32 v27, v3
	s_waitcnt lgkmcnt(2)
	v_pk_mul_f32 v[2:3], v[64:65], v[14:15]
	v_pk_add_f32 v[44:45], v[24:25], v[26:27] neg_lo:[0,1] neg_hi:[0,1]
	v_pk_fma_f32 v[8:9], v[178:179], v[14:15], v[2:3] op_sel:[0,0,1] op_sel_hi:[1,1,0]
	v_pk_fma_f32 v[2:3], v[178:179], v[14:15], v[2:3] op_sel:[0,0,1] op_sel_hi:[1,1,0] neg_lo:[0,0,1] neg_hi:[0,0,1]
	s_nop 0
	v_mov_b32_e32 v9, v3
	s_waitcnt lgkmcnt(1)
	v_pk_mul_f32 v[2:3], v[66:67], v[16:17]
	v_pk_add_f32 v[40:41], v[26:27], v[8:9] neg_lo:[0,1] neg_hi:[0,1]
	v_pk_fma_f32 v[28:29], v[132:133], v[16:17], v[2:3] op_sel:[0,0,1] op_sel_hi:[1,1,0]
	v_pk_fma_f32 v[2:3], v[132:133], v[16:17], v[2:3] op_sel:[0,0,1] op_sel_hi:[1,1,0] neg_lo:[0,0,1] neg_hi:[0,0,1]
	ds_read2_b64 v[14:17], v99 offset0:84 offset1:169
	v_mov_b32_e32 v29, v3
	v_pk_add_f32 v[2:3], v[4:5], v[24:25]
	v_pk_add_f32 v[46:47], v[28:29], v[8:9] neg_lo:[0,1] neg_hi:[0,1]
	v_pk_add_f32 v[2:3], v[2:3], v[26:27]
	s_waitcnt lgkmcnt(0)
	v_pk_mul_f32 v[30:31], v[60:61], v[14:15]
	v_pk_mul_f32 v[34:35], v[52:53], v[16:17]
	v_pk_fma_f32 v[32:33], v[122:123], v[14:15], v[30:31] op_sel:[0,0,1] op_sel_hi:[1,1,0]
	v_pk_fma_f32 v[14:15], v[122:123], v[14:15], v[30:31] op_sel:[0,0,1] op_sel_hi:[1,1,0] neg_lo:[0,0,1] neg_hi:[0,0,1]
	v_pk_fma_f32 v[36:37], v[114:115], v[16:17], v[34:35] op_sel:[0,0,1] op_sel_hi:[1,1,0]
	v_mov_b32_e32 v33, v15
	v_pk_mul_f32 v[14:15], v[62:63], v[10:11]
	v_pk_fma_f32 v[16:17], v[114:115], v[16:17], v[34:35] op_sel:[0,0,1] op_sel_hi:[1,1,0] neg_lo:[0,0,1] neg_hi:[0,0,1]
	v_pk_fma_f32 v[30:31], v[120:121], v[10:11], v[14:15] op_sel:[0,0,1] op_sel_hi:[1,1,0]
	v_pk_fma_f32 v[10:11], v[120:121], v[10:11], v[14:15] op_sel:[0,0,1] op_sel_hi:[1,1,0] neg_lo:[0,0,1] neg_hi:[0,0,1]
	v_mov_b32_e32 v37, v17
	v_mov_b32_e32 v31, v11
	v_pk_mul_f32 v[10:11], v[56:57], v[20:21]
	v_pk_mul_f32 v[16:17], v[54:55], v[12:13]
	v_pk_fma_f32 v[14:15], v[118:119], v[20:21], v[10:11] op_sel:[0,0,1] op_sel_hi:[1,1,0]
	v_pk_fma_f32 v[10:11], v[118:119], v[20:21], v[10:11] op_sel:[0,0,1] op_sel_hi:[1,1,0] neg_lo:[0,0,1] neg_hi:[0,0,1]
	v_pk_fma_f32 v[34:35], v[112:113], v[12:13], v[16:17] op_sel:[0,0,1] op_sel_hi:[1,1,0]
	v_mov_b32_e32 v15, v11
	v_pk_mul_f32 v[10:11], v[58:59], v[18:19]
	v_pk_fma_f32 v[12:13], v[112:113], v[12:13], v[16:17] op_sel:[0,0,1] op_sel_hi:[1,1,0] neg_lo:[0,0,1] neg_hi:[0,0,1]
	v_pk_fma_f32 v[20:21], v[116:117], v[18:19], v[10:11] op_sel:[0,0,1] op_sel_hi:[1,1,0]
	v_pk_fma_f32 v[10:11], v[116:117], v[18:19], v[10:11] op_sel:[0,0,1] op_sel_hi:[1,1,0] neg_lo:[0,0,1] neg_hi:[0,0,1]
	ds_read_b64 v[18:19], v197 offset:9520
	v_mov_b32_e32 v35, v13
	v_pk_mul_f32 v[12:13], v[48:49], v[22:23]
	v_pk_add_f32 v[2:3], v[2:3], v[8:9]
	v_pk_fma_f32 v[16:17], v[110:111], v[22:23], v[12:13] op_sel:[0,0,1] op_sel_hi:[1,1,0]
	v_pk_fma_f32 v[12:13], v[110:111], v[22:23], v[12:13] op_sel:[0,0,1] op_sel_hi:[1,1,0] neg_lo:[0,0,1] neg_hi:[0,0,1]
	v_pk_add_f32 v[2:3], v[2:3], v[28:29]
	v_mov_b32_e32 v17, v13
	s_waitcnt lgkmcnt(0)
	v_pk_mul_f32 v[12:13], v[50:51], v[18:19]
	ds_write_b64 v131, v[2:3]
	v_pk_fma_f32 v[22:23], v[108:109], v[18:19], v[12:13] op_sel:[0,0,1] op_sel_hi:[1,1,0]
	v_pk_fma_f32 v[12:13], v[108:109], v[18:19], v[12:13] op_sel:[0,0,1] op_sel_hi:[1,1,0] neg_lo:[0,0,1] neg_hi:[0,0,1]
	v_pk_add_f32 v[2:3], v[26:27], v[8:9]
	v_pk_add_f32 v[18:19], v[24:25], v[28:29] neg_lo:[0,1] neg_hi:[0,1]
	v_pk_fma_f32 v[2:3], v[2:3], 0.5, v[4:5] op_sel_hi:[1,0,1] neg_lo:[1,0,0] neg_hi:[1,0,0]
	v_pk_mul_f32 v[38:39], v[18:19], s[10:11] op_sel_hi:[1,0]
	v_pk_mul_f32 v[42:43], v[40:41], s[14:15] op_sel_hi:[1,0]
	v_pk_add_f32 v[44:45], v[44:45], v[46:47]
	v_pk_add_f32 v[46:47], v[2:3], v[38:39] op_sel:[0,1] op_sel_hi:[1,0] neg_lo:[0,1] neg_hi:[0,1]
	v_pk_add_f32 v[2:3], v[2:3], v[38:39] op_sel:[0,1] op_sel_hi:[1,0]
	v_pk_add_f32 v[38:39], v[46:47], v[42:43] op_sel:[0,1] op_sel_hi:[1,0] neg_lo:[0,1] neg_hi:[0,1]
	v_pk_add_f32 v[46:47], v[24:25], v[28:29]
	v_pk_add_f32 v[24:25], v[26:27], v[24:25] neg_lo:[0,1] neg_hi:[0,1]
	v_pk_add_f32 v[8:9], v[8:9], v[28:29] neg_lo:[0,1] neg_hi:[0,1]
	v_pk_fma_f32 v[4:5], v[46:47], 0.5, v[4:5] op_sel_hi:[1,0,1] neg_lo:[1,0,0] neg_hi:[1,0,0]
	v_pk_add_f32 v[8:9], v[24:25], v[8:9]
	v_pk_mul_f32 v[24:25], v[40:41], s[10:11] op_sel_hi:[1,0]
	v_pk_mul_f32 v[18:19], v[18:19], s[14:15] op_sel_hi:[1,0]
	v_pk_add_f32 v[26:27], v[4:5], v[24:25] op_sel:[0,1] op_sel_hi:[1,0]
	v_pk_add_f32 v[4:5], v[4:5], v[24:25] op_sel:[0,1] op_sel_hi:[1,0] neg_lo:[0,1] neg_hi:[0,1]
	v_pk_add_f32 v[2:3], v[2:3], v[42:43] op_sel:[0,1] op_sel_hi:[1,0]
	v_pk_add_f32 v[4:5], v[4:5], v[18:19] op_sel:[0,1] op_sel_hi:[1,0]
	v_pk_add_f32 v[18:19], v[26:27], v[18:19] op_sel:[0,1] op_sel_hi:[1,0] neg_lo:[0,1] neg_hi:[0,1]
	v_mov_b32_e32 v42, v38
	v_mov_b32_e32 v43, v3
	;; [unrolled: 1-line block ×4, first 2 shown]
	v_pk_fma_f32 v[42:43], v[44:45], s[0:1], v[42:43] op_sel_hi:[1,0,1]
	v_pk_fma_f32 v[24:25], v[8:9], s[0:1], v[24:25] op_sel_hi:[1,0,1]
	v_add_u32_e32 v3, 0x7f8, v196
	ds_write2_b64 v3, v[42:43], v[24:25] offset1:255
	v_mov_b32_e32 v5, v19
	v_mov_b32_e32 v3, v39
	;; [unrolled: 1-line block ×3, first 2 shown]
	v_pk_fma_f32 v[4:5], v[8:9], s[0:1], v[4:5] op_sel_hi:[1,0,1]
	v_pk_fma_f32 v[2:3], v[44:45], s[0:1], v[2:3] op_sel_hi:[1,0,1]
	v_add_u32_e32 v8, 0x17e8, v196
	ds_write2_b64 v8, v[4:5], v[2:3] offset1:255
	v_pk_add_f32 v[2:3], v[30:31], v[14:15]
	v_pk_add_f32 v[4:5], v[32:33], v[20:21] neg_lo:[0,1] neg_hi:[0,1]
	v_pk_fma_f32 v[2:3], v[2:3], 0.5, v[6:7] op_sel_hi:[1,0,1] neg_lo:[1,0,0] neg_hi:[1,0,0]
	v_pk_mul_f32 v[8:9], v[4:5], s[10:11] op_sel_hi:[1,0]
	v_pk_add_f32 v[18:19], v[30:31], v[14:15] neg_lo:[0,1] neg_hi:[0,1]
	v_pk_add_f32 v[26:27], v[32:33], v[30:31] neg_lo:[0,1] neg_hi:[0,1]
	;; [unrolled: 1-line block ×3, first 2 shown]
	v_pk_add_f32 v[10:11], v[6:7], v[32:33]
	v_pk_mul_f32 v[24:25], v[18:19], s[14:15] op_sel_hi:[1,0]
	v_pk_add_f32 v[26:27], v[26:27], v[28:29]
	v_pk_add_f32 v[28:29], v[2:3], v[8:9] op_sel:[0,1] op_sel_hi:[1,0] neg_lo:[0,1] neg_hi:[0,1]
	v_pk_add_f32 v[10:11], v[10:11], v[30:31]
	v_pk_add_f32 v[2:3], v[2:3], v[8:9] op_sel:[0,1] op_sel_hi:[1,0]
	v_pk_add_f32 v[8:9], v[28:29], v[24:25] op_sel:[0,1] op_sel_hi:[1,0] neg_lo:[0,1] neg_hi:[0,1]
	v_pk_add_f32 v[28:29], v[32:33], v[20:21]
	v_pk_add_f32 v[10:11], v[10:11], v[14:15]
	v_pk_fma_f32 v[6:7], v[28:29], 0.5, v[6:7] op_sel_hi:[1,0,1] neg_lo:[1,0,0] neg_hi:[1,0,0]
	v_pk_mul_f32 v[18:19], v[18:19], s[10:11] op_sel_hi:[1,0]
	v_pk_add_f32 v[10:11], v[10:11], v[20:21]
	v_pk_add_f32 v[14:15], v[14:15], v[20:21] neg_lo:[0,1] neg_hi:[0,1]
	v_pk_mul_f32 v[4:5], v[4:5], s[14:15] op_sel_hi:[1,0]
	v_pk_add_f32 v[20:21], v[6:7], v[18:19] op_sel:[0,1] op_sel_hi:[1,0]
	v_pk_add_f32 v[6:7], v[6:7], v[18:19] op_sel:[0,1] op_sel_hi:[1,0] neg_lo:[0,1] neg_hi:[0,1]
	v_pk_add_f32 v[2:3], v[2:3], v[24:25] op_sel:[0,1] op_sel_hi:[1,0]
	v_pk_add_f32 v[28:29], v[30:31], v[32:33] neg_lo:[0,1] neg_hi:[0,1]
	v_pk_add_f32 v[6:7], v[6:7], v[4:5] op_sel:[0,1] op_sel_hi:[1,0]
	v_pk_add_f32 v[4:5], v[20:21], v[4:5] op_sel:[0,1] op_sel_hi:[1,0] neg_lo:[0,1] neg_hi:[0,1]
	v_mov_b32_e32 v24, v8
	v_mov_b32_e32 v25, v3
	v_pk_add_f32 v[14:15], v[28:29], v[14:15]
	v_mov_b32_e32 v18, v4
	v_mov_b32_e32 v19, v7
	;; [unrolled: 1-line block ×3, first 2 shown]
	v_pk_add_f32 v[12:13], v[0:1], v[36:37]
	v_pk_fma_f32 v[24:25], v[26:27], s[0:1], v[24:25] op_sel_hi:[1,0,1]
	v_pk_fma_f32 v[18:19], v[14:15], s[0:1], v[18:19] op_sel_hi:[1,0,1]
	v_add_u32_e32 v3, 0x7f8, v105
	v_pk_add_f32 v[12:13], v[12:13], v[34:35]
	ds_write2_b64 v3, v[24:25], v[18:19] offset1:255
	v_mov_b32_e32 v7, v5
	v_mov_b32_e32 v3, v9
	v_pk_add_f32 v[12:13], v[12:13], v[16:17]
	v_pk_fma_f32 v[4:5], v[14:15], s[0:1], v[6:7] op_sel_hi:[1,0,1]
	v_pk_fma_f32 v[2:3], v[26:27], s[0:1], v[2:3] op_sel_hi:[1,0,1]
	v_add_u32_e32 v6, 0x17e8, v105
	v_pk_add_f32 v[12:13], v[12:13], v[22:23]
	ds_write2_b64 v6, v[4:5], v[2:3] offset1:255
	ds_write2_b64 v196, v[10:11], v[12:13] offset0:85 offset1:170
	v_pk_add_f32 v[2:3], v[34:35], v[16:17]
	v_pk_add_f32 v[4:5], v[36:37], v[22:23] neg_lo:[0,1] neg_hi:[0,1]
	v_pk_fma_f32 v[2:3], v[2:3], 0.5, v[0:1] op_sel_hi:[1,0,1] neg_lo:[1,0,0] neg_hi:[1,0,0]
	v_pk_mul_f32 v[6:7], v[4:5], s[10:11] op_sel_hi:[1,0]
	v_pk_add_f32 v[8:9], v[34:35], v[16:17] neg_lo:[0,1] neg_hi:[0,1]
	v_pk_add_f32 v[12:13], v[36:37], v[34:35] neg_lo:[0,1] neg_hi:[0,1]
	v_pk_add_f32 v[14:15], v[22:23], v[16:17] neg_lo:[0,1] neg_hi:[0,1]
	v_pk_mul_f32 v[10:11], v[8:9], s[14:15] op_sel_hi:[1,0]
	v_pk_add_f32 v[12:13], v[12:13], v[14:15]
	v_pk_add_f32 v[14:15], v[2:3], v[6:7] op_sel:[0,1] op_sel_hi:[1,0] neg_lo:[0,1] neg_hi:[0,1]
	v_pk_add_f32 v[2:3], v[2:3], v[6:7] op_sel:[0,1] op_sel_hi:[1,0]
	v_pk_add_f32 v[6:7], v[14:15], v[10:11] op_sel:[0,1] op_sel_hi:[1,0] neg_lo:[0,1] neg_hi:[0,1]
	v_pk_add_f32 v[14:15], v[36:37], v[22:23]
	v_pk_add_f32 v[16:17], v[16:17], v[22:23] neg_lo:[0,1] neg_hi:[0,1]
	v_pk_fma_f32 v[0:1], v[14:15], 0.5, v[0:1] op_sel_hi:[1,0,1] neg_lo:[1,0,0] neg_hi:[1,0,0]
	v_pk_add_f32 v[14:15], v[34:35], v[36:37] neg_lo:[0,1] neg_hi:[0,1]
	v_pk_mul_f32 v[8:9], v[8:9], s[10:11] op_sel_hi:[1,0]
	v_pk_add_f32 v[14:15], v[14:15], v[16:17]
	v_pk_mul_f32 v[4:5], v[4:5], s[14:15] op_sel_hi:[1,0]
	v_pk_add_f32 v[16:17], v[0:1], v[8:9] op_sel:[0,1] op_sel_hi:[1,0]
	v_pk_add_f32 v[0:1], v[0:1], v[8:9] op_sel:[0,1] op_sel_hi:[1,0] neg_lo:[0,1] neg_hi:[0,1]
	v_pk_add_f32 v[2:3], v[2:3], v[10:11] op_sel:[0,1] op_sel_hi:[1,0]
	v_pk_add_f32 v[0:1], v[0:1], v[4:5] op_sel:[0,1] op_sel_hi:[1,0]
	v_pk_add_f32 v[4:5], v[16:17], v[4:5] op_sel:[0,1] op_sel_hi:[1,0] neg_lo:[0,1] neg_hi:[0,1]
	v_mov_b32_e32 v10, v6
	v_mov_b32_e32 v11, v3
	;; [unrolled: 1-line block ×4, first 2 shown]
	v_pk_fma_f32 v[10:11], v[12:13], s[0:1], v[10:11] op_sel_hi:[1,0,1]
	v_pk_fma_f32 v[8:9], v[14:15], s[0:1], v[8:9] op_sel_hi:[1,0,1]
	v_add_u32_e32 v1, 0x7f8, v104
	ds_write2_b64 v1, v[10:11], v[8:9] offset1:255
	v_mov_b32_e32 v1, v5
	v_mov_b32_e32 v3, v7
	v_pk_fma_f32 v[0:1], v[14:15], s[0:1], v[0:1] op_sel_hi:[1,0,1]
	v_pk_fma_f32 v[2:3], v[12:13], s[0:1], v[2:3] op_sel_hi:[1,0,1]
	v_add_u32_e32 v4, 0x17e8, v104
	ds_write2_b64 v4, v[0:1], v[2:3] offset1:255
	s_waitcnt lgkmcnt(0)
	s_barrier
	s_and_b64 exec, exec, s[2:3]
	s_cbranch_execz .LBB0_15
; %bb.14:
	global_load_dwordx2 v[0:1], v216, s[8:9]
	v_mad_u64_u32 v[4:5], s[0:1], s6, v220, 0
	ds_read_b64 v[6:7], v131
	v_mad_u64_u32 v[8:9], s[2:3], s4, v218, 0
	v_mov_b32_e32 v10, v5
	v_mov_b32_e32 v12, v9
	v_mad_u64_u32 v[10:11], s[2:3], s7, v220, v[10:11]
	v_mov_b32_e32 v2, s12
	v_mov_b32_e32 v3, s13
	;; [unrolled: 3-line block ×3, first 2 shown]
	v_lshl_add_u64 v[2:3], v[4:5], 3, v[2:3]
	v_lshl_add_u64 v[4:5], v[8:9], 3, v[2:3]
	s_mov_b32 s0, 0xe68019b3
	s_mov_b32 s1, 0x3f49b34c
	v_mov_b32_e32 v12, 0x258
	s_mul_i32 s2, s5, 0x258
	v_mov_b32_e32 v217, 0
	v_add_u32_e32 v13, 0x1000, v196
	s_movk_i32 s3, 0x2000
	s_waitcnt vmcnt(0) lgkmcnt(0)
	v_mul_f32_e32 v2, v7, v1
	v_mul_f32_e32 v1, v6, v1
	v_fmac_f32_e32 v2, v6, v0
	v_fma_f32 v3, v0, v7, -v1
	v_cvt_f64_f32_e32 v[0:1], v2
	v_cvt_f64_f32_e32 v[2:3], v3
	v_mul_f64 v[0:1], v[0:1], s[0:1]
	v_mul_f64 v[2:3], v[2:3], s[0:1]
	v_cvt_f32_f64_e32 v0, v[0:1]
	v_cvt_f32_f64_e32 v1, v[2:3]
	global_store_dwordx2 v[4:5], v[0:1], off
	global_load_dwordx2 v[6:7], v216, s[8:9] offset:600
	ds_read2_b64 v[0:3], v196 offset0:75 offset1:150
	v_mad_u64_u32 v[4:5], s[6:7], s4, v12, v[4:5]
	v_add_u32_e32 v5, s2, v5
	s_waitcnt vmcnt(0) lgkmcnt(0)
	v_mul_f32_e32 v8, v1, v7
	v_mul_f32_e32 v7, v0, v7
	v_fmac_f32_e32 v8, v0, v6
	v_fma_f32 v6, v6, v1, -v7
	v_cvt_f64_f32_e32 v[0:1], v8
	v_cvt_f64_f32_e32 v[6:7], v6
	v_mul_f64 v[0:1], v[0:1], s[0:1]
	v_mul_f64 v[6:7], v[6:7], s[0:1]
	v_cvt_f32_f64_e32 v0, v[0:1]
	v_cvt_f32_f64_e32 v1, v[6:7]
	global_store_dwordx2 v[4:5], v[0:1], off
	global_load_dwordx2 v[0:1], v216, s[8:9] offset:1200
	v_mad_u64_u32 v[4:5], s[6:7], s4, v12, v[4:5]
	v_add_u32_e32 v5, s2, v5
	s_waitcnt vmcnt(0)
	v_mul_f32_e32 v6, v3, v1
	v_mul_f32_e32 v1, v2, v1
	v_fmac_f32_e32 v6, v2, v0
	v_fma_f32 v2, v0, v3, -v1
	v_cvt_f64_f32_e32 v[0:1], v6
	v_cvt_f64_f32_e32 v[2:3], v2
	v_mul_f64 v[0:1], v[0:1], s[0:1]
	v_mul_f64 v[2:3], v[2:3], s[0:1]
	v_cvt_f32_f64_e32 v0, v[0:1]
	v_cvt_f32_f64_e32 v1, v[2:3]
	global_store_dwordx2 v[4:5], v[0:1], off
	global_load_dwordx2 v[6:7], v216, s[8:9] offset:1800
	v_add_u32_e32 v0, 0x400, v196
	ds_read2_b64 v[0:3], v0 offset0:97 offset1:172
	v_mad_u64_u32 v[4:5], s[6:7], s4, v12, v[4:5]
	v_add_u32_e32 v5, s2, v5
	s_waitcnt vmcnt(0) lgkmcnt(0)
	v_mul_f32_e32 v8, v1, v7
	v_mul_f32_e32 v7, v0, v7
	v_fmac_f32_e32 v8, v0, v6
	v_fma_f32 v6, v6, v1, -v7
	v_cvt_f64_f32_e32 v[0:1], v8
	v_cvt_f64_f32_e32 v[6:7], v6
	v_mul_f64 v[0:1], v[0:1], s[0:1]
	v_mul_f64 v[6:7], v[6:7], s[0:1]
	v_cvt_f32_f64_e32 v0, v[0:1]
	v_cvt_f32_f64_e32 v1, v[6:7]
	global_store_dwordx2 v[4:5], v[0:1], off
	global_load_dwordx2 v[0:1], v216, s[8:9] offset:2400
	v_mad_u64_u32 v[4:5], s[6:7], s4, v12, v[4:5]
	v_add_u32_e32 v5, s2, v5
	s_waitcnt vmcnt(0)
	v_mul_f32_e32 v6, v3, v1
	v_mul_f32_e32 v1, v2, v1
	v_fmac_f32_e32 v6, v2, v0
	v_fma_f32 v2, v0, v3, -v1
	v_cvt_f64_f32_e32 v[0:1], v6
	v_cvt_f64_f32_e32 v[2:3], v2
	v_mul_f64 v[0:1], v[0:1], s[0:1]
	v_mul_f64 v[2:3], v[2:3], s[0:1]
	v_cvt_f32_f64_e32 v0, v[0:1]
	v_cvt_f32_f64_e32 v1, v[2:3]
	global_store_dwordx2 v[4:5], v[0:1], off
	global_load_dwordx2 v[6:7], v216, s[8:9] offset:3000
	v_add_u32_e32 v0, 0x800, v196
	ds_read2_b64 v[0:3], v0 offset0:119 offset1:194
	v_mad_u64_u32 v[4:5], s[6:7], s4, v12, v[4:5]
	v_add_u32_e32 v5, s2, v5
	s_waitcnt vmcnt(0) lgkmcnt(0)
	v_mul_f32_e32 v8, v1, v7
	v_mul_f32_e32 v7, v0, v7
	v_fmac_f32_e32 v8, v0, v6
	v_fma_f32 v6, v6, v1, -v7
	v_cvt_f64_f32_e32 v[0:1], v8
	v_cvt_f64_f32_e32 v[6:7], v6
	v_mul_f64 v[0:1], v[0:1], s[0:1]
	v_mul_f64 v[6:7], v[6:7], s[0:1]
	v_cvt_f32_f64_e32 v0, v[0:1]
	v_cvt_f32_f64_e32 v1, v[6:7]
	global_store_dwordx2 v[4:5], v[0:1], off
	global_load_dwordx2 v[0:1], v216, s[8:9] offset:3600
	v_lshl_add_u64 v[6:7], s[8:9], 0, v[216:217]
	v_mad_u64_u32 v[4:5], s[6:7], s4, v12, v[4:5]
	v_add_co_u32_e32 v8, vcc, s11, v6
	v_add_u32_e32 v5, s2, v5
	s_nop 0
	v_addc_co_u32_e32 v9, vcc, 0, v7, vcc
	v_add_co_u32_e32 v6, vcc, s3, v6
	s_waitcnt vmcnt(0)
	v_mul_f32_e32 v10, v3, v1
	v_mul_f32_e32 v1, v2, v1
	v_fmac_f32_e32 v10, v2, v0
	v_fma_f32 v2, v0, v3, -v1
	v_cvt_f64_f32_e32 v[0:1], v10
	v_cvt_f64_f32_e32 v[2:3], v2
	v_mul_f64 v[0:1], v[0:1], s[0:1]
	v_mul_f64 v[2:3], v[2:3], s[0:1]
	v_cvt_f32_f64_e32 v0, v[0:1]
	v_cvt_f32_f64_e32 v1, v[2:3]
	global_store_dwordx2 v[4:5], v[0:1], off
	global_load_dwordx2 v[10:11], v[8:9], off offset:104
	ds_read2_b64 v[0:3], v13 offset0:13 offset1:88
	v_mad_u64_u32 v[4:5], s[6:7], s4, v12, v[4:5]
	v_add_u32_e32 v5, s2, v5
	v_addc_co_u32_e32 v7, vcc, 0, v7, vcc
	s_waitcnt vmcnt(0) lgkmcnt(0)
	v_mul_f32_e32 v14, v1, v11
	v_mul_f32_e32 v11, v0, v11
	v_fmac_f32_e32 v14, v0, v10
	v_fma_f32 v10, v10, v1, -v11
	v_cvt_f64_f32_e32 v[0:1], v14
	v_cvt_f64_f32_e32 v[10:11], v10
	v_mul_f64 v[0:1], v[0:1], s[0:1]
	v_mul_f64 v[10:11], v[10:11], s[0:1]
	v_cvt_f32_f64_e32 v0, v[0:1]
	v_cvt_f32_f64_e32 v1, v[10:11]
	global_store_dwordx2 v[4:5], v[0:1], off
	global_load_dwordx2 v[0:1], v[8:9], off offset:704
	v_mad_u64_u32 v[4:5], s[6:7], s4, v12, v[4:5]
	v_add_u32_e32 v5, s2, v5
	s_waitcnt vmcnt(0)
	v_mul_f32_e32 v10, v3, v1
	v_mul_f32_e32 v1, v2, v1
	v_fmac_f32_e32 v10, v2, v0
	v_fma_f32 v2, v0, v3, -v1
	v_cvt_f64_f32_e32 v[0:1], v10
	v_cvt_f64_f32_e32 v[2:3], v2
	v_mul_f64 v[0:1], v[0:1], s[0:1]
	v_mul_f64 v[2:3], v[2:3], s[0:1]
	v_cvt_f32_f64_e32 v0, v[0:1]
	v_cvt_f32_f64_e32 v1, v[2:3]
	global_store_dwordx2 v[4:5], v[0:1], off
	global_load_dwordx2 v[10:11], v[8:9], off offset:1304
	ds_read2_b64 v[0:3], v13 offset0:163 offset1:238
	v_mad_u64_u32 v[4:5], s[6:7], s4, v12, v[4:5]
	v_add_u32_e32 v5, s2, v5
	s_waitcnt vmcnt(0) lgkmcnt(0)
	v_mul_f32_e32 v13, v1, v11
	v_mul_f32_e32 v11, v0, v11
	v_fmac_f32_e32 v13, v0, v10
	v_fma_f32 v10, v10, v1, -v11
	v_cvt_f64_f32_e32 v[0:1], v13
	v_cvt_f64_f32_e32 v[10:11], v10
	v_mul_f64 v[0:1], v[0:1], s[0:1]
	v_mul_f64 v[10:11], v[10:11], s[0:1]
	v_cvt_f32_f64_e32 v0, v[0:1]
	v_cvt_f32_f64_e32 v1, v[10:11]
	global_store_dwordx2 v[4:5], v[0:1], off
	global_load_dwordx2 v[0:1], v[8:9], off offset:1904
	v_mad_u64_u32 v[4:5], s[6:7], s4, v12, v[4:5]
	v_add_u32_e32 v5, s2, v5
	s_waitcnt vmcnt(0)
	v_mul_f32_e32 v10, v3, v1
	v_mul_f32_e32 v1, v2, v1
	v_fmac_f32_e32 v10, v2, v0
	v_fma_f32 v2, v0, v3, -v1
	v_cvt_f64_f32_e32 v[0:1], v10
	v_cvt_f64_f32_e32 v[2:3], v2
	v_mul_f64 v[0:1], v[0:1], s[0:1]
	v_mul_f64 v[2:3], v[2:3], s[0:1]
	v_cvt_f32_f64_e32 v0, v[0:1]
	v_cvt_f32_f64_e32 v1, v[2:3]
	global_store_dwordx2 v[4:5], v[0:1], off
	global_load_dwordx2 v[10:11], v[8:9], off offset:2504
	v_add_u32_e32 v0, 0x1800, v196
	ds_read2_b64 v[0:3], v0 offset0:57 offset1:132
	v_mad_u64_u32 v[4:5], s[6:7], s4, v12, v[4:5]
	v_add_u32_e32 v5, s2, v5
	s_waitcnt vmcnt(0) lgkmcnt(0)
	v_mul_f32_e32 v13, v1, v11
	v_mul_f32_e32 v11, v0, v11
	v_fmac_f32_e32 v13, v0, v10
	v_fma_f32 v10, v10, v1, -v11
	v_cvt_f64_f32_e32 v[0:1], v13
	v_cvt_f64_f32_e32 v[10:11], v10
	v_mul_f64 v[0:1], v[0:1], s[0:1]
	v_mul_f64 v[10:11], v[10:11], s[0:1]
	v_cvt_f32_f64_e32 v0, v[0:1]
	v_cvt_f32_f64_e32 v1, v[10:11]
	global_store_dwordx2 v[4:5], v[0:1], off
	global_load_dwordx2 v[0:1], v[8:9], off offset:3104
	v_mad_u64_u32 v[4:5], s[6:7], s4, v12, v[4:5]
	v_add_u32_e32 v5, s2, v5
	s_waitcnt vmcnt(0)
	v_mul_f32_e32 v10, v3, v1
	v_mul_f32_e32 v1, v2, v1
	v_fmac_f32_e32 v10, v2, v0
	v_fma_f32 v2, v0, v3, -v1
	v_cvt_f64_f32_e32 v[0:1], v10
	v_cvt_f64_f32_e32 v[2:3], v2
	v_mul_f64 v[0:1], v[0:1], s[0:1]
	v_mul_f64 v[2:3], v[2:3], s[0:1]
	v_cvt_f32_f64_e32 v0, v[0:1]
	v_cvt_f32_f64_e32 v1, v[2:3]
	global_store_dwordx2 v[4:5], v[0:1], off
	global_load_dwordx2 v[8:9], v[8:9], off offset:3704
	v_add_u32_e32 v0, 0x1c00, v196
	;; [unrolled: 32-line block ×3, first 2 shown]
	ds_read2_b64 v[0:3], v0 offset0:101 offset1:176
	v_mad_u64_u32 v[4:5], s[6:7], s4, v12, v[4:5]
	v_add_u32_e32 v5, s2, v5
	s_waitcnt vmcnt(0) lgkmcnt(0)
	v_mul_f32_e32 v10, v1, v9
	v_mul_f32_e32 v9, v0, v9
	v_fmac_f32_e32 v10, v0, v8
	v_fma_f32 v8, v8, v1, -v9
	v_cvt_f64_f32_e32 v[0:1], v10
	v_cvt_f64_f32_e32 v[8:9], v8
	v_mul_f64 v[0:1], v[0:1], s[0:1]
	v_mul_f64 v[8:9], v[8:9], s[0:1]
	v_cvt_f32_f64_e32 v0, v[0:1]
	v_cvt_f32_f64_e32 v1, v[8:9]
	global_store_dwordx2 v[4:5], v[0:1], off
	global_load_dwordx2 v[0:1], v[6:7], off offset:1408
	v_mad_u64_u32 v[4:5], s[4:5], s4, v12, v[4:5]
	v_add_u32_e32 v5, s2, v5
	s_waitcnt vmcnt(0)
	v_mul_f32_e32 v6, v3, v1
	v_mul_f32_e32 v1, v2, v1
	v_fmac_f32_e32 v6, v2, v0
	v_fma_f32 v2, v0, v3, -v1
	v_cvt_f64_f32_e32 v[0:1], v6
	v_cvt_f64_f32_e32 v[2:3], v2
	v_mul_f64 v[0:1], v[0:1], s[0:1]
	v_mul_f64 v[2:3], v[2:3], s[0:1]
	v_cvt_f32_f64_e32 v0, v[0:1]
	v_cvt_f32_f64_e32 v1, v[2:3]
	global_store_dwordx2 v[4:5], v[0:1], off
.LBB0_15:
	s_endpgm
	.section	.rodata,"a",@progbits
	.p2align	6, 0x0
	.amdhsa_kernel bluestein_single_fwd_len1275_dim1_sp_op_CI_CI
		.amdhsa_group_segment_fixed_size 30600
		.amdhsa_private_segment_fixed_size 0
		.amdhsa_kernarg_size 104
		.amdhsa_user_sgpr_count 2
		.amdhsa_user_sgpr_dispatch_ptr 0
		.amdhsa_user_sgpr_queue_ptr 0
		.amdhsa_user_sgpr_kernarg_segment_ptr 1
		.amdhsa_user_sgpr_dispatch_id 0
		.amdhsa_user_sgpr_kernarg_preload_length 0
		.amdhsa_user_sgpr_kernarg_preload_offset 0
		.amdhsa_user_sgpr_private_segment_size 0
		.amdhsa_uses_dynamic_stack 0
		.amdhsa_enable_private_segment 0
		.amdhsa_system_sgpr_workgroup_id_x 1
		.amdhsa_system_sgpr_workgroup_id_y 0
		.amdhsa_system_sgpr_workgroup_id_z 0
		.amdhsa_system_sgpr_workgroup_info 0
		.amdhsa_system_vgpr_workitem_id 0
		.amdhsa_next_free_vgpr 342
		.amdhsa_next_free_sgpr 60
		.amdhsa_accum_offset 256
		.amdhsa_reserve_vcc 1
		.amdhsa_float_round_mode_32 0
		.amdhsa_float_round_mode_16_64 0
		.amdhsa_float_denorm_mode_32 3
		.amdhsa_float_denorm_mode_16_64 3
		.amdhsa_dx10_clamp 1
		.amdhsa_ieee_mode 1
		.amdhsa_fp16_overflow 0
		.amdhsa_tg_split 0
		.amdhsa_exception_fp_ieee_invalid_op 0
		.amdhsa_exception_fp_denorm_src 0
		.amdhsa_exception_fp_ieee_div_zero 0
		.amdhsa_exception_fp_ieee_overflow 0
		.amdhsa_exception_fp_ieee_underflow 0
		.amdhsa_exception_fp_ieee_inexact 0
		.amdhsa_exception_int_div_zero 0
	.end_amdhsa_kernel
	.text
.Lfunc_end0:
	.size	bluestein_single_fwd_len1275_dim1_sp_op_CI_CI, .Lfunc_end0-bluestein_single_fwd_len1275_dim1_sp_op_CI_CI
                                        ; -- End function
	.section	.AMDGPU.csdata,"",@progbits
; Kernel info:
; codeLenInByte = 21792
; NumSgprs: 66
; NumVgprs: 256
; NumAgprs: 86
; TotalNumVgprs: 342
; ScratchSize: 0
; MemoryBound: 0
; FloatMode: 240
; IeeeMode: 1
; LDSByteSize: 30600 bytes/workgroup (compile time only)
; SGPRBlocks: 8
; VGPRBlocks: 42
; NumSGPRsForWavesPerEU: 66
; NumVGPRsForWavesPerEU: 342
; AccumOffset: 256
; Occupancy: 1
; WaveLimiterHint : 1
; COMPUTE_PGM_RSRC2:SCRATCH_EN: 0
; COMPUTE_PGM_RSRC2:USER_SGPR: 2
; COMPUTE_PGM_RSRC2:TRAP_HANDLER: 0
; COMPUTE_PGM_RSRC2:TGID_X_EN: 1
; COMPUTE_PGM_RSRC2:TGID_Y_EN: 0
; COMPUTE_PGM_RSRC2:TGID_Z_EN: 0
; COMPUTE_PGM_RSRC2:TIDIG_COMP_CNT: 0
; COMPUTE_PGM_RSRC3_GFX90A:ACCUM_OFFSET: 63
; COMPUTE_PGM_RSRC3_GFX90A:TG_SPLIT: 0
	.text
	.p2alignl 6, 3212836864
	.fill 256, 4, 3212836864
	.type	__hip_cuid_d27ebe0690f816af,@object ; @__hip_cuid_d27ebe0690f816af
	.section	.bss,"aw",@nobits
	.globl	__hip_cuid_d27ebe0690f816af
__hip_cuid_d27ebe0690f816af:
	.byte	0                               ; 0x0
	.size	__hip_cuid_d27ebe0690f816af, 1

	.ident	"AMD clang version 19.0.0git (https://github.com/RadeonOpenCompute/llvm-project roc-6.4.0 25133 c7fe45cf4b819c5991fe208aaa96edf142730f1d)"
	.section	".note.GNU-stack","",@progbits
	.addrsig
	.addrsig_sym __hip_cuid_d27ebe0690f816af
	.amdgpu_metadata
---
amdhsa.kernels:
  - .agpr_count:     86
    .args:
      - .actual_access:  read_only
        .address_space:  global
        .offset:         0
        .size:           8
        .value_kind:     global_buffer
      - .actual_access:  read_only
        .address_space:  global
        .offset:         8
        .size:           8
        .value_kind:     global_buffer
      - .actual_access:  read_only
        .address_space:  global
        .offset:         16
        .size:           8
        .value_kind:     global_buffer
      - .actual_access:  read_only
        .address_space:  global
        .offset:         24
        .size:           8
        .value_kind:     global_buffer
      - .actual_access:  read_only
        .address_space:  global
        .offset:         32
        .size:           8
        .value_kind:     global_buffer
      - .offset:         40
        .size:           8
        .value_kind:     by_value
      - .address_space:  global
        .offset:         48
        .size:           8
        .value_kind:     global_buffer
      - .address_space:  global
        .offset:         56
        .size:           8
        .value_kind:     global_buffer
      - .address_space:  global
        .offset:         64
        .size:           8
        .value_kind:     global_buffer
      - .address_space:  global
        .offset:         72
        .size:           8
        .value_kind:     global_buffer
      - .offset:         80
        .size:           4
        .value_kind:     by_value
      - .address_space:  global
        .offset:         88
        .size:           8
        .value_kind:     global_buffer
      - .address_space:  global
        .offset:         96
        .size:           8
        .value_kind:     global_buffer
    .group_segment_fixed_size: 30600
    .kernarg_segment_align: 8
    .kernarg_segment_size: 104
    .language:       OpenCL C
    .language_version:
      - 2
      - 0
    .max_flat_workgroup_size: 255
    .name:           bluestein_single_fwd_len1275_dim1_sp_op_CI_CI
    .private_segment_fixed_size: 0
    .sgpr_count:     66
    .sgpr_spill_count: 0
    .symbol:         bluestein_single_fwd_len1275_dim1_sp_op_CI_CI.kd
    .uniform_work_group_size: 1
    .uses_dynamic_stack: false
    .vgpr_count:     342
    .vgpr_spill_count: 0
    .wavefront_size: 64
amdhsa.target:   amdgcn-amd-amdhsa--gfx950
amdhsa.version:
  - 1
  - 2
...

	.end_amdgpu_metadata
